;; amdgpu-corpus repo=ROCm/aiter kind=harvested arch=n/a opt=n/a

/root/src/amdgpu-assembly/repos/ROCm__aiter/hsa/gfx950/fmha_v3_bwd/bwd_hd64_fp16_causal_br_a32_pssk.co:	file format elf64-amdgpu

Disassembly of section .text:

0000000000004000 <_ZN5aiter47fmha_bwd_hd64_fp16_causal_br_a32_pssk_recompileE>:
	s_and_b32 s1, s1, 0xffff                                   // 000000004000: 8601FF01 0000FFFF
	s_load_dwordx2 s[32:33], s[0:1], 0x0                       // 000000004008: C0060800 00000000
	s_load_dwordx2 s[36:37], s[0:1], 0x10                      // 000000004010: C0060900 00000010
	s_load_dwordx2 s[40:41], s[0:1], 0x20                      // 000000004018: C0060A00 00000020
	s_load_dwordx2 s[8:9], s[0:1], 0x30                        // 000000004020: C0060200 00000030
	s_load_dwordx2 s[12:13], s[0:1], 0x40                      // 000000004028: C0060300 00000040
	s_load_dwordx2 s[16:17], s[0:1], 0x50                      // 000000004030: C0060400 00000050
	s_load_dwordx2 s[20:21], s[0:1], 0x60                      // 000000004038: C0060500 00000060
	s_load_dwordx2 s[24:25], s[0:1], 0x70                      // 000000004040: C0060600 00000070
	s_load_dwordx2 s[28:29], s[0:1], 0x80                      // 000000004048: C0060700 00000080
	s_load_dword s47, s[0:1], 0x90                             // 000000004050: C0020BC0 00000090
	s_load_dword s48, s[0:1], 0xa0                             // 000000004058: C0020C00 000000A0
	s_load_dword s49, s[0:1], 0xb0                             // 000000004060: C0020C40 000000B0
	s_load_dword s78, s[0:1], 0xd0                             // 000000004068: C0021380 000000D0
	s_load_dword s79, s[0:1], 0xe0                             // 000000004070: C00213C0 000000E0
	s_load_dword s5, s[0:1], 0xf0                              // 000000004078: C0020140 000000F0
	s_load_dword s44, s[0:1], 0x100                            // 000000004080: C0020B00 00000100
	s_load_dword s88, s[0:1], 0x110                            // 000000004088: C0021600 00000110
	s_load_dword s89, s[0:1], 0x120                            // 000000004090: C0021640 00000120
	s_load_dword s6, s[0:1], 0x130                             // 000000004098: C0020180 00000130
	s_load_dword s52, s[0:1], 0x140                            // 0000000040A0: C0020D00 00000140
	s_load_dword s50, s[0:1], 0x150                            // 0000000040A8: C0020C80 00000150
	s_load_dword s100, s[0:1], 0x180                           // 0000000040B0: C0021900 00000180
	s_load_dword s90, s[0:1], 0x190                            // 0000000040B8: C0021680 00000190
	s_load_dword s91, s[0:1], 0x1a0                            // 0000000040C0: C00216C0 000001A0
	s_load_dword s7, s[0:1], 0x1b0                             // 0000000040C8: C00201C0 000001B0
	s_load_dword s92, s[0:1], 0x1c0                            // 0000000040D0: C0021700 000001C0
	s_load_dword s93, s[0:1], 0x1d0                            // 0000000040D8: C0021740 000001D0
	s_load_dword s51, s[0:1], 0x1e0                            // 0000000040E0: C0020CC0 000001E0
	s_load_dword s94, s[0:1], 0x1f0                            // 0000000040E8: C0021780 000001F0
	s_load_dword s95, s[0:1], 0x200                            // 0000000040F0: C00217C0 00000200
	s_load_dword s96, s[0:1], 0x210                            // 0000000040F8: C0021800 00000210
	s_load_dword s97, s[0:1], 0x220                            // 000000004100: C0021840 00000220
	s_load_dword s53, s[0:1], 0x230                            // 000000004108: C0020D40 00000230
	v_lshrrev_b32_e32 v1, 10, v0                               // 000000004110: 2002008A
	v_lshrrev_b32_e32 v2, 10, v1                               // 000000004114: 2004028A
	v_and_b32_e32 v2, 0x3ff, v2                                // 000000004118: 260404FF 000003FF
	v_and_b32_e32 v1, 0x3ff, v1                                // 000000004120: 260202FF 000003FF
	v_and_b32_e32 v0, 0x3ff, v0                                // 000000004128: 260000FF 000003FF
	v_lshrrev_b32_e32 v3, 6, v0                                // 000000004130: 20060086
	v_and_b32_e32 v0, 63, v0                                   // 000000004134: 260000BF
	s_mov_b32 s2, s2                                           // 000000004138: BE820002
	s_mov_b32 s3, s3                                           // 00000000413C: BE830003
	s_mov_b32 s4, s4                                           // 000000004140: BE840004
	v_readfirstlane_b32 s46, v3                                // 000000004144: 7E5C0503
	s_waitcnt lgkmcnt(0)                                       // 000000004148: BF8CC07F
	s_mov_b32 s11, 0x20000                                     // 00000000414C: BE8B00FF 00020000
	s_mov_b32 s15, 0x20000                                     // 000000004154: BE8F00FF 00020000
	s_mov_b32 s19, 0x20000                                     // 00000000415C: BE9300FF 00020000
	s_mov_b32 s23, 0x20000                                     // 000000004164: BE9700FF 00020000
	s_mov_b32 s27, 0x20000                                     // 00000000416C: BE9B00FF 00020000
	s_mov_b32 s31, 0x20000                                     // 000000004174: BE9F00FF 00020000
	s_mov_b32 s35, 0x20000                                     // 00000000417C: BEA300FF 00020000
	s_mov_b32 s39, 0x20000                                     // 000000004184: BEA700FF 00020000
	s_mov_b32 s43, 0x20000                                     // 00000000418C: BEAB00FF 00020000
	s_and_b32 s9, s9, 0xffff                                   // 000000004194: 8609FF09 0000FFFF
	s_and_b32 s13, s13, 0xffff                                 // 00000000419C: 860DFF0D 0000FFFF
	s_and_b32 s17, s17, 0xffff                                 // 0000000041A4: 8611FF11 0000FFFF
	s_and_b32 s21, s21, 0xffff                                 // 0000000041AC: 8615FF15 0000FFFF
	s_and_b32 s25, s25, 0xffff                                 // 0000000041B4: 8619FF19 0000FFFF
	s_and_b32 s29, s29, 0xffff                                 // 0000000041BC: 861DFF1D 0000FFFF
	s_and_b32 s33, s33, 0xffff                                 // 0000000041C4: 8621FF21 0000FFFF
	s_and_b32 s37, s37, 0xffff                                 // 0000000041CC: 8625FF25 0000FFFF
	s_and_b32 s41, s41, 0xffff                                 // 0000000041D4: 8629FF29 0000FFFF
	s_or_b32 s9, s9, 0x40000                                   // 0000000041DC: 8709FF09 00040000
	s_or_b32 s13, s13, 0x40000                                 // 0000000041E4: 870DFF0D 00040000
	s_or_b32 s17, s17, 0x40000                                 // 0000000041EC: 8711FF11 00040000
	s_or_b32 s21, s21, 0x40000                                 // 0000000041F4: 8715FF15 00040000
	s_or_b32 s25, s25, 0x40000                                 // 0000000041FC: 8719FF19 00040000
	s_or_b32 s29, s29, 0x40000                                 // 000000004204: 871DFF1D 00040000
	s_or_b32 s33, s33, 0x40000                                 // 00000000420C: 8721FF21 00040000
	s_or_b32 s37, s37, 0x40000                                 // 000000004214: 8725FF25 00040000
	s_or_b32 s41, s41, 0x40000                                 // 00000000421C: 8729FF29 00040000
	v_accvgpr_write_b32 a159, 0                                // 000000004224: D3D9409F 18000080
	v_mov_b32_e32 v232, 0                                      // 00000000422C: 7FD00280
	s_mov_b32 s71, s3                                          // 000000004230: BEC70003
	v_cvt_f32_u32_e32 v32, s44                                 // 000000004234: 7E400C2C
	s_sub_i32 s60, 0, s44                                      // 000000004238: 81BC2C80
	v_rcp_iflag_f32_e32 v32, v32                               // 00000000423C: 7E404720
	s_nop 0                                                    // 000000004240: BF800000
	v_mul_f32_e32 v32, 0x4f7ffffe, v32                         // 000000004244: 0A4040FF 4F7FFFFE
	v_cvt_u32_f32_e32 v32, v32                                 // 00000000424C: 7E400F20
	v_mul_lo_u32 v33, s60, v32                                 // 000000004250: D2850021 0002403C
	v_mul_hi_u32 v33, v32, v33                                 // 000000004258: D2860021 00024320
	v_add_u32_e32 v32, v32, v33                                // 000000004260: 68404320
	v_mul_hi_u32 v32, s71, v32                                 // 000000004264: D2860020 00024047
	v_mul_lo_u32 v33, v32, s44                                 // 00000000426C: D2850021 00005920
	v_sub_u32_e32 v35, s71, v33                                // 000000004274: 6A464247
	v_add_u32_e32 v34, 1, v32                                  // 000000004278: 68444081
	v_cmp_le_u32_e32 vcc, s44, v35                             // 00000000427C: 7D96462C
	v_subrev_u32_e32 v33, s44, v35                             // 000000004280: 6C42462C
	s_nop 0                                                    // 000000004284: BF800000
	v_cndmask_b32_e32 v32, v32, v34, vcc                       // 000000004288: 00404520
	v_cndmask_b32_e32 v35, v35, v33, vcc                       // 00000000428C: 00464323
	v_add_u32_e32 v33, 1, v32                                  // 000000004290: 68424081
	v_cmp_le_u32_e32 vcc, s44, v35                             // 000000004294: 7D96462C
	s_nop 1                                                    // 000000004298: BF800001
	v_cndmask_b32_e32 v35, v32, v33, vcc                       // 00000000429C: 00464320
	s_nop 3                                                    // 0000000042A0: BF800003
	v_readfirstlane_b32 s45, v35                               // 0000000042A4: 7E5A0523
	s_nop 3                                                    // 0000000042A8: BF800003
	s_mul_i32 s61, s45, s88                                    // 0000000042AC: 923D582D
	s_mov_b32 s54, s61                                         // 0000000042B0: BEB6003D
	s_add_u32 s12, s54, s12                                    // 0000000042B4: 800C0C36
	s_addc_u32 s13, 0, s13                                     // 0000000042B8: 820D0D80
	s_mul_i32 s60, s4, s89                                     // 0000000042BC: 923C5904
	s_mul_hi_u32 s61, s4, s89                                  // 0000000042C0: 963D5904
	s_and_b32 s61, s61, 0xffff                                 // 0000000042C4: 863DFF3D 0000FFFF
	s_add_u32 s12, s12, s60                                    // 0000000042CC: 800C3C0C
	s_addc_u32 s13, s13, s61                                   // 0000000042D0: 820D3D0D
	s_mul_i32 s61, s45, s90                                    // 0000000042D4: 923D5A2D
	s_mov_b32 s54, s61                                         // 0000000042D8: BEB6003D
	s_add_u32 s16, s54, s16                                    // 0000000042DC: 80101036
	s_addc_u32 s17, 0, s17                                     // 0000000042E0: 82111180
	s_mul_i32 s60, s4, s91                                     // 0000000042E4: 923C5B04
	s_mul_hi_u32 s61, s4, s91                                  // 0000000042E8: 963D5B04
	s_and_b32 s61, s61, 0xffff                                 // 0000000042EC: 863DFF3D 0000FFFF
	s_add_u32 s16, s16, s60                                    // 0000000042F4: 80103C10
	s_addc_u32 s17, s17, s61                                   // 0000000042F8: 82113D11
	s_mul_i32 s61, s3, s78                                     // 0000000042FC: 923D4E03
	s_mov_b32 s55, s61                                         // 000000004300: BEB7003D
	s_add_u32 s8, s55, s8                                      // 000000004304: 80080837
	s_addc_u32 s9, 0, s9                                       // 000000004308: 82090980
	s_mul_i32 s60, s4, s79                                     // 00000000430C: 923C4F04
	s_mul_hi_u32 s61, s4, s79                                  // 000000004310: 963D4F04
	s_and_b32 s61, s61, 0xffff                                 // 000000004314: 863DFF3D 0000FFFF
	s_add_u32 s8, s8, s60                                      // 00000000431C: 80083C08
	s_addc_u32 s9, s9, s61                                     // 000000004320: 82093D09
	s_mul_i32 s61, s3, s92                                     // 000000004324: 923D5C03
	s_mov_b32 s56, s61                                         // 000000004328: BEB8003D
	s_add_u32 s20, s56, s20                                    // 00000000432C: 80141438
	s_addc_u32 s21, 0, s21                                     // 000000004330: 82151580
	s_mul_i32 s60, s4, s93                                     // 000000004334: 923C5D04
	s_mul_hi_u32 s61, s4, s93                                  // 000000004338: 963D5D04
	s_and_b32 s61, s61, 0xffff                                 // 00000000433C: 863DFF3D 0000FFFF
	s_add_u32 s20, s20, s60                                    // 000000004344: 80143C14
	s_addc_u32 s21, s21, s61                                   // 000000004348: 82153D15
	s_mul_i32 s62, s4, s100                                    // 00000000434C: 923E6404
	s_mul_i32 s62, s62, s49                                    // 000000004350: 923E313E
	s_lshl_b32 s62, s62, 2                                     // 000000004354: 8E3E823E
	s_mul_i32 s61, s3, s49                                     // 000000004358: 923D3103
	s_mul_i32 s61, 4, s61                                      // 00000000435C: 923D3D84
	s_add_u32 s65, s61, s62                                    // 000000004360: 80413E3D
	s_mov_b32 s26, s49                                         // 000000004364: BE9A0031
	s_mov_b32 s30, s49                                         // 000000004368: BE9E0031
	s_add_u32 s24, s65, s24                                    // 00000000436C: 80181841
	s_addc_u32 s25, 0, s25                                     // 000000004370: 82191980
	s_add_u32 s28, s65, s28                                    // 000000004374: 801C1C41
	s_addc_u32 s29, 0, s29                                     // 000000004378: 821D1D80
	s_mul_i32 s61, s3, s94                                     // 00000000437C: 923D5E03
	s_mul_i32 s62, s4, s95                                     // 000000004380: 923E5F04
	s_add_u32 s60, s61, s62                                    // 000000004384: 803C3E3D
	s_mul_hi_u32 s61, s4, s95                                  // 000000004388: 963D5F04
	s_and_b32 s61, s61, 0xffff                                 // 00000000438C: 863DFF3D 0000FFFF
	s_add_u32 s36, s60, s36                                    // 000000004394: 8024243C
	s_addc_u32 s37, s61, s37                                   // 000000004398: 8225253D
	s_mul_i32 s60, s50, s52                                    // 00000000439C: 923C3432
	s_lshr_b32 s60, s60, 2                                     // 0000000043A0: 8F3C823C
	s_mov_b32 s38, s60                                         // 0000000043A4: BEA6003C
	s_mul_i32 s61, s3, s96                                     // 0000000043A8: 923D6003
	s_mul_i32 s62, s4, s97                                     // 0000000043AC: 923E6104
	s_add_u32 s60, s61, s62                                    // 0000000043B0: 803C3E3D
	s_mul_hi_u32 s61, s4, s97                                  // 0000000043B4: 963D6104
	s_and_b32 s61, s61, 0xffff                                 // 0000000043B8: 863DFF3D 0000FFFF
	s_add_u32 s40, s60, s40                                    // 0000000043C0: 8028283C
	s_addc_u32 s41, s61, s41                                   // 0000000043C4: 8229293D
	s_mul_i32 s60, s50, s53                                    // 0000000043C8: 923C3532
	s_lshr_b32 s60, s60, 2                                     // 0000000043CC: 8F3C823C
	s_mov_b32 s42, s60                                         // 0000000043D0: BEAA003C
	s_mul_i32 s60, 64, s65                                     // 0000000043D4: 923C41C0
	s_mul_hi_u32 s61, 64, s65                                  // 0000000043D8: 963D41C0
	s_and_b32 s61, s61, 0xffff                                 // 0000000043DC: 863DFF3D 0000FFFF
	s_add_u32 s32, s60, s32                                    // 0000000043E4: 8020203C
	s_addc_u32 s33, s61, s33                                   // 0000000043E8: 8221213D
	s_mul_i32 s60, 64, s49                                     // 0000000043EC: 923C31C0
	s_mov_b32 s34, s60                                         // 0000000043F0: BEA2003C
	s_mov_b32 s80, s8                                          // 0000000043F4: BED00008
	s_mov_b32 s82, s12                                         // 0000000043F8: BED2000C
	s_mov_b32 s84, s16                                         // 0000000043FC: BED40010
	s_mov_b32 s86, s20                                         // 000000004400: BED60014
	s_mov_b32 s81, s9                                          // 000000004404: BED10009
	s_mov_b32 s83, s13                                         // 000000004408: BED3000D
	s_mov_b32 s85, s17                                         // 00000000440C: BED50011
	s_mov_b32 s87, s21                                         // 000000004410: BED70015
	s_add_u32 s71, 0xbf, s50                                   // 000000004414: 804732FF 000000BF
	s_mov_b32 s74, 0xc0                                        // 00000000441C: BECA00FF 000000C0
	v_cvt_f32_u32_e32 v32, s74                                 // 000000004424: 7E400C4A
	s_sub_i32 s60, 0, s74                                      // 000000004428: 81BC4A80
	v_rcp_iflag_f32_e32 v32, v32                               // 00000000442C: 7E404720
	s_nop 0                                                    // 000000004430: BF800000
	v_mul_f32_e32 v32, 0x4f7ffffe, v32                         // 000000004434: 0A4040FF 4F7FFFFE
	v_cvt_u32_f32_e32 v32, v32                                 // 00000000443C: 7E400F20
	v_mul_lo_u32 v33, s60, v32                                 // 000000004440: D2850021 0002403C
	v_mul_hi_u32 v33, v32, v33                                 // 000000004448: D2860021 00024320
	v_add_u32_e32 v32, v32, v33                                // 000000004450: 68404320
	v_mul_hi_u32 v32, s71, v32                                 // 000000004454: D2860020 00024047
	v_mul_lo_u32 v33, v32, s74                                 // 00000000445C: D2850021 00009520
	v_sub_u32_e32 v35, s71, v33                                // 000000004464: 6A464247
	v_add_u32_e32 v34, 1, v32                                  // 000000004468: 68444081
	v_cmp_le_u32_e32 vcc, s74, v35                             // 00000000446C: 7D96464A
	v_subrev_u32_e32 v33, s74, v35                             // 000000004470: 6C42464A
	s_nop 0                                                    // 000000004474: BF800000
	v_cndmask_b32_e32 v32, v32, v34, vcc                       // 000000004478: 00404520
	v_cndmask_b32_e32 v35, v35, v33, vcc                       // 00000000447C: 00464323
	v_add_u32_e32 v33, 1, v32                                  // 000000004480: 68424081
	v_cmp_le_u32_e32 vcc, s74, v35                             // 000000004484: 7D96464A
	s_nop 1                                                    // 000000004488: BF800001
	v_cndmask_b32_e32 v35, v32, v33, vcc                       // 00000000448C: 00464320
	s_nop 3                                                    // 000000004490: BF800003
	v_readfirstlane_b32 s77, v35                               // 000000004494: 7E9A0523
	s_nop 3                                                    // 000000004498: BF800003
	v_mov_b32_e32 v32, s47                                     // 00000000449C: 7E40022F
	v_mul_f32_e32 v32, s48, v32                                // 0000000044A0: 0A404030
	s_mov_b32 s58, s49                                         // 0000000044A4: BEBA0031
	s_mov_b32 s59, 0                                           // 0000000044A8: BEBB0080
	s_mov_b32 s63, 0x5040100                                   // 0000000044AC: BEBF00FF 05040100
	s_mov_b32 s64, 0x7060302                                   // 0000000044B4: BEC000FF 07060302
	v_readfirstlane_b32 s57, v32                               // 0000000044BC: 7E720520
	v_mov_b32_e32 v34, 0x3020706                               // 0000000044C0: 7E4402FF 03020706
	v_mov_b32_e32 v32, s63                                     // 0000000044C8: 7E40023F
	v_and_b32_e32 v33, 1, v0                                   // 0000000044CC: 26420081
	v_cmp_eq_u32_e32 vcc, 1, v33                               // 0000000044D0: 7D944281
	s_mov_b32 s67, 0x800                                       // 0000000044D4: BEC300FF 00000800
	v_cndmask_b32_e32 v17, v32, v34, vcc                       // 0000000044DC: 00224520
	s_cmp_lt_u32 s46, 2                                        // 0000000044E0: BF0A822E
	s_cselect_b32 s24, s24, s28                                // 0000000044E4: 85181C18
	s_cselect_b32 s25, s25, s29                                // 0000000044E8: 85191D19
	s_cselect_b32 s26, s26, s30                                // 0000000044EC: 851A1E1A
	s_cselect_b32 s27, s27, s31                                // 0000000044F0: 851B1F1B
	s_lshr_b32 s60, s46, 1                                     // 0000000044F4: 8F3C812E
	s_lshl_b32 s60, s60, 8                                     // 0000000044F8: 8E3C883C
	s_add_u32 s78, 0x9a00, s60                                 // 0000000044FC: 804E3CFF 00009A00
	s_add_u32 s79, 0x200, s78                                  // 000000004504: 804F4EFF 00000200
	s_mov_b32 m0, s78                                          // 00000000450C: BEFC004E
	s_mov_b32 s75, 0                                           // 000000004510: BECB0080
	s_mov_b32 s76, 1                                           // 000000004514: BECC0081
	s_lshl_b32 s60, s2, 1                                      // 000000004518: 8E3C8102
	s_add_u32 s60, 1, s60                                      // 00000000451C: 803C3C81
	s_cmp_ge_i32 s60, s77                                      // 000000004520: BF034D3C
	s_cselect_b32 s76, s76, 2                                  // 000000004524: 854C824C

0000000000004528 <label_014A>:
	s_mov_b32 m0, s78                                          // 000000004528: BEFC004E
	s_mov_b32 s66, 0                                           // 00000000452C: BEC20080
	v_mov_b32_e32 v178, 0xff800000                             // 000000004530: 7F6402FF FF800000
	s_mov_b32 s74, 0                                           // 000000004538: BECA0080
	s_mul_i32 s68, 8, s5                                       // 00000000453C: 92440588
	s_mul_i32 s99, 8, s51                                      // 000000004540: 92633388
	s_mov_b32 s69, 32                                          // 000000004544: BEC500A0
	s_mul_i32 s93, 0xc0, s2                                    // 000000004548: 925D02FF 000000C0
	s_sub_i32 s60, s50, s49                                    // 000000004550: 81BC3132
	s_sub_i32 s71, s93, s60                                    // 000000004554: 81C73C5D
	s_cmp_ge_i32 s71, 0                                        // 000000004558: BF038047
	s_cselect_b32 s59, s71, 0                                  // 00000000455C: 853B8047
	s_add_i32 s60, s71, 0xc0                                   // 000000004560: 813CFF47 000000C0
	s_cmp_le_i32 s60, 0                                        // 000000004568: BF05803C
	s_cbranch_scc0 label_015E                                  // 00000000456C: BF840002
	s_mov_b32 s92, 0                                           // 000000004570: BEDC0080
	s_branch label_016A                                        // 000000004574: BF82000C

0000000000004578 <label_015E>:
	s_mov_b32 s92, 1                                           // 000000004578: BEDC0081
	s_sub_i32 s60, s59, s71                                    // 00000000457C: 81BC473B
	v_lshrrev_b32_e32 v32, 4, v0                               // 000000004580: 20400084
	v_mul_i32_i24_e32 v32, 4, v32                              // 000000004584: 0C404084
	v_add_i32 v32, v32, s60                                    // 000000004588: D29C0020 00007920
	v_and_b32_e32 v33, 15, v0                                  // 000000004590: 2642008F
	v_mul_i32_i24_e64 v34, s46, 16                             // 000000004594: D1060022 0001202E
	v_add_u32_e32 v33, v33, v34                                // 00000000459C: 68424521
	v_sub_i32 v232, v33, v32                                   // 0000000045A0: D29D00E8 00024121

00000000000045a8 <label_016A>:
	s_mul_i32 s54, s6, s93                                     // 0000000045A8: 92365D06
	s_sub_i32 s61, s50, s93                                    // 0000000045AC: 81BD5D32
	s_mul_i32 s62, s6, s61                                     // 0000000045B0: 923E3D06
	s_lshr_b32 s62, s62, 2                                     // 0000000045B4: 8F3E823E
	s_mov_b32 s14, s62                                         // 0000000045B8: BE8E003E
	s_add_u32 s12, s54, s82                                    // 0000000045BC: 800C5236
	s_addc_u32 s13, 0, s83                                     // 0000000045C0: 820D5380
	s_mul_i32 s54, s7, s93                                     // 0000000045C4: 92365D07
	s_mul_i32 s62, s7, s61                                     // 0000000045C8: 923E3D07
	s_lshr_b32 s62, s62, 2                                     // 0000000045CC: 8F3E823E
	s_mov_b32 s18, s62                                         // 0000000045D0: BE92003E
	s_add_u32 s16, s54, s84                                    // 0000000045D4: 80105436
	s_addc_u32 s17, 0, s85                                     // 0000000045D8: 82115580
	s_mov_b32 s71, s6                                          // 0000000045DC: BEC70006
	v_lshrrev_b32_e32 v32, 4, v0                               // 0000000045E0: 20400084
	v_and_b32_e32 v33, 1, v32                                  // 0000000045E4: 26424081
	v_lshlrev_b32_e32 v33, 1, v33                              // 0000000045E8: 24424281
	v_mul_i32_i24_e32 v33, s71, v33                            // 0000000045EC: 0C424247
	v_and_b32_e32 v34, 2, v32                                  // 0000000045F0: 26444082
	v_lshlrev_b32_e32 v34, 5, v34                              // 0000000045F4: 24444485
	v_add_u32_e32 v33, v34, v33                                // 0000000045F8: 68424322
	v_and_b32_e32 v32, 15, v0                                  // 0000000045FC: 2640008F
	v_lshlrev_b32_e32 v32, 2, v32                              // 000000004600: 24404082
	v_add_u32_e32 v1, v32, v33                                 // 000000004604: 68024320
	s_mul_i32 s60, s46, s71                                    // 000000004608: 923C472E
	s_mul_i32 s60, s60, 4                                      // 00000000460C: 923C843C
	v_add_u32_e32 v1, s60, v1                                  // 000000004610: 6802023C
	v_add_u32_e32 v2, s71, v1                                  // 000000004614: 68040247
	s_mul_i32 s60, 16, s71                                     // 000000004618: 923C4790
	v_add_u32_e32 v3, s60, v1                                  // 00000000461C: 6806023C
	v_add_u32_e32 v4, s60, v2                                  // 000000004620: 6808043C
	s_mov_b32 s71, s7                                          // 000000004624: BEC70007
	v_lshrrev_b32_e32 v32, 4, v0                               // 000000004628: 20400084
	v_and_b32_e32 v33, 1, v32                                  // 00000000462C: 26424081
	v_lshlrev_b32_e32 v33, 1, v33                              // 000000004630: 24424281
	v_mul_i32_i24_e32 v33, s71, v33                            // 000000004634: 0C424247
	v_and_b32_e32 v34, 2, v32                                  // 000000004638: 26444082
	v_lshlrev_b32_e32 v34, 5, v34                              // 00000000463C: 24444485
	v_add_u32_e32 v33, v34, v33                                // 000000004640: 68424322
	v_and_b32_e32 v32, 15, v0                                  // 000000004644: 2640008F
	v_lshlrev_b32_e32 v32, 2, v32                              // 000000004648: 24404082
	v_add_u32_e32 v228, v32, v33                               // 00000000464C: 69C84320
	s_mul_i32 s60, s46, s71                                    // 000000004650: 923C472E
	s_mul_i32 s60, s60, 4                                      // 000000004654: 923C843C
	v_add_u32_e32 v228, s60, v228                              // 000000004658: 69C9C83C
	v_add_u32_e32 v229, s71, v228                              // 00000000465C: 69CBC847
	s_mul_i32 s60, 16, s71                                     // 000000004660: 923C4790
	v_add_u32_e32 v230, s60, v228                              // 000000004664: 69CDC83C
	v_add_u32_e32 v231, s60, v229                              // 000000004668: 69CFCA3C
	v_lshrrev_b32_e32 v1, 2, v1                                // 00000000466C: 20020282
	v_lshrrev_b32_e32 v2, 2, v2                                // 000000004670: 20040482
	v_lshrrev_b32_e32 v228, 2, v228                            // 000000004674: 21C9C882
	v_lshrrev_b32_e32 v229, 2, v229                            // 000000004678: 21CBCA82
	s_mov_b32 s70, s52                                         // 00000000467C: BEC60034
	v_lshrrev_b32_e32 v32, 3, v0                               // 000000004680: 20400083
	v_mul_i32_i24_e32 v5, s70, v32                             // 000000004684: 0C0A4046
	v_lshrrev_b32_e32 v5, 2, v5                                // 000000004688: 200A0A82
	v_and_b32_e32 v32, 7, v0                                   // 00000000468C: 26400087
	v_lshlrev_b32_e32 v33, 2, v32                              // 000000004690: 24424082
	v_add_u32_e32 v5, v33, v5                                  // 000000004694: 680A0B21
	s_mul_i32 s60, 16, s70                                     // 000000004698: 923C4690
	s_mul_i32 s60, s46, s60                                    // 00000000469C: 923C3C2E
	v_lshlrev_b32_e32 v5, 2, v5                                // 0000000046A0: 240A0A82
	v_add_u32_e32 v5, s60, v5                                  // 0000000046A4: 680A0A3C
	s_mul_i32 s60, s52, s93                                    // 0000000046A8: 923C5D34
	v_add_u32_e32 v5, s60, v5                                  // 0000000046AC: 680A0A3C
	v_lshrrev_b32_e32 v5, 2, v5                                // 0000000046B0: 200A0A82
	s_mov_b32 s70, s53                                         // 0000000046B4: BEC60035
	v_lshrrev_b32_e32 v32, 3, v0                               // 0000000046B8: 20400083
	v_mul_i32_i24_e32 v10, s70, v32                            // 0000000046BC: 0C144046
	v_lshrrev_b32_e32 v10, 2, v10                              // 0000000046C0: 20141482
	v_and_b32_e32 v32, 7, v0                                   // 0000000046C4: 26400087
	v_lshlrev_b32_e32 v33, 2, v32                              // 0000000046C8: 24424082
	v_add_u32_e32 v10, v33, v10                                // 0000000046CC: 68141521
	s_mul_i32 s60, 16, s70                                     // 0000000046D0: 923C4690
	s_mul_i32 s60, s46, s60                                    // 0000000046D4: 923C3C2E
	v_lshlrev_b32_e32 v10, 2, v10                              // 0000000046D8: 24141482
	v_add_u32_e32 v10, s60, v10                                // 0000000046DC: 6814143C
	s_mul_i32 s60, s53, s93                                    // 0000000046E0: 923C5D35
	v_add_u32_e32 v10, s60, v10                                // 0000000046E4: 6814143C
	v_lshrrev_b32_e32 v10, 2, v10                              // 0000000046E8: 20141482
	s_cmp_ge_i32 s59, s49                                      // 0000000046EC: BF03313B
	s_cselect_b32 s59, s49, s59                                // 0000000046F0: 853B3B31
	s_add_u32 s73, 32, s59                                     // 0000000046F4: 80493BA0
	s_mul_i32 s55, s5, s59                                     // 0000000046F8: 92373B05
	s_sub_i32 s61, s49, s59                                    // 0000000046FC: 81BD3B31
	s_mul_i32 s62, s5, s61                                     // 000000004700: 923E3D05
	s_lshr_b32 s62, s62, 2                                     // 000000004704: 8F3E823E
	s_mov_b32 s10, s62                                         // 000000004708: BE8A003E
	s_add_u32 s8, s55, s80                                     // 00000000470C: 80085037
	s_addc_u32 s9, 0, s81                                      // 000000004710: 82095180
	s_mul_i32 s56, s51, s59                                    // 000000004714: 92383B33
	s_mul_i32 s62, s51, s61                                    // 000000004718: 923E3D33
	s_lshr_b32 s62, s62, 2                                     // 00000000471C: 8F3E823E
	s_mov_b32 s22, s62                                         // 000000004720: BE96003E
	s_add_u32 s20, s56, s86                                    // 000000004724: 80145638
	s_addc_u32 s21, 0, s87                                     // 000000004728: 82155780
	s_mul_i32 s65, s59, 4                                      // 00000000472C: 9241843B
	v_and_b32_e32 v11, 31, v0                                  // 000000004730: 2616009F
	v_lshlrev_b32_e32 v11, 2, v11                              // 000000004734: 24161682
	v_add_u32_e32 v11, s65, v11                                // 000000004738: 68161641
	v_lshrrev_b32_e32 v11, 2, v11                              // 00000000473C: 20161682
	v_lshrrev_b32_e32 v32, 5, v0                               // 000000004740: 20400085
	v_mul_i32_i24_e32 v6, 0x80, v32                            // 000000004744: 0C0C40FF 00000080
	v_and_b32_e32 v32, 31, v0                                  // 00000000474C: 2640009F
	v_add_u32_e32 v6, v32, v6                                  // 000000004750: 680C0D20
	s_mul_i32 s60, s46, 0x100                                  // 000000004754: 923CFF2E 00000100
	v_add_u32_e32 v6, s60, v6                                  // 00000000475C: 680C0C3C
	v_lshlrev_b32_e32 v6, 2, v6                                // 000000004760: 240C0C82
	v_add_u32_e32 v7, 0x100, v6                                // 000000004764: 680E0CFF 00000100
	v_add_u32_e32 v8, 0x1000, v6                               // 00000000476C: 68100CFF 00001000
	v_add_u32_e32 v9, 0x1000, v7                               // 000000004774: 68120EFF 00001000
	s_mul_i32 s60, 64, s65                                     // 00000000477C: 923C41C0
	v_add_u32_e32 v6, s60, v6                                  // 000000004780: 680C0C3C
	v_lshrrev_b32_e32 v6, 2, v6                                // 000000004784: 200C0C82
	v_add_u32_e32 v7, s60, v7                                  // 000000004788: 680E0E3C
	v_lshrrev_b32_e32 v7, 2, v7                                // 00000000478C: 200E0E82
	v_add_u32_e32 v8, s60, v8                                  // 000000004790: 6810103C
	v_lshrrev_b32_e32 v8, 2, v8                                // 000000004794: 20101082
	v_add_u32_e32 v9, s60, v9                                  // 000000004798: 6812123C
	v_lshrrev_b32_e32 v9, 2, v9                                // 00000000479C: 20121282
	s_mul_i32 s60, 3, s2                                       // 0000000047A0: 923C0283
	s_add_u32 s61, s50, 63                                     // 0000000047A4: 803DBF32
	s_lshr_b32 s61, s61, 6                                     // 0000000047A8: 8F3D863D
	s_sub_i32 s72, s61, s60                                    // 0000000047AC: 81C83C3D
	s_cmp_lt_i32 s72, 3                                        // 0000000047B0: BF048348
	s_cselect_b32 s72, s72, 3                                  // 0000000047B4: 85488348
	s_mul_i32 s60, 0xc0, s2                                    // 0000000047B8: 923C02FF 000000C0
	s_sub_i32 s101, s50, s60                                   // 0000000047C0: 81E53C32
	v_and_b32_e32 v32, 31, v0                                  // 0000000047C4: 2640009F
	v_lshrrev_b32_e32 v32, 1, v32                              // 0000000047C8: 20404081
	v_and_b32_e32 v33, 1, v32                                  // 0000000047CC: 26424081
	v_lshlrev_b32_e32 v33, 4, v33                              // 0000000047D0: 24424284
	v_and_b32_e32 v34, 2, v32                                  // 0000000047D4: 26444082
	v_lshlrev_b32_e32 v34, 2, v34                              // 0000000047D8: 24444482
	v_add_u32_e32 v33, v34, v33                                // 0000000047DC: 68424322
	v_and_b32_e32 v34, 12, v32                                 // 0000000047E0: 2644408C
	v_lshrrev_b32_e32 v34, 1, v34                              // 0000000047E4: 20444481
	v_add_u32_e32 v33, v34, v33                                // 0000000047E8: 68424322
	v_lshrrev_b32_e32 v32, 5, v0                               // 0000000047EC: 20400085
	v_mul_i32_i24_e32 v34, 0x80, v32                           // 0000000047F0: 0C4440FF 00000080
	v_add_u32_e32 v33, v34, v33                                // 0000000047F8: 68424322
	v_and_b32_e32 v34, 1, v0                                   // 0000000047FC: 26440081
	v_add_u32_e32 v13, v34, v33                                // 000000004800: 681A4322
	s_mul_i32 s60, s46, 32                                     // 000000004804: 923CA02E
	v_add_u32_e32 v13, s60, v13                                // 000000004808: 681A1A3C
	v_lshlrev_b32_e32 v13, 2, v13                              // 00000000480C: 241A1A82
	v_lshrrev_b32_e32 v32, 4, v0                               // 000000004810: 20400084
	v_and_b32_e32 v33, 1, v32                                  // 000000004814: 26424081
	v_lshlrev_b32_e32 v33, 4, v33                              // 000000004818: 24424284
	v_and_b32_e32 v34, 2, v32                                  // 00000000481C: 26444082
	v_mul_i32_i24_e32 v34, 4, v34                              // 000000004820: 0C444484
	v_add_u32_e32 v33, v34, v33                                // 000000004824: 68424322
	v_and_b32_e32 v32, 15, v0                                  // 000000004828: 2640008F
	v_lshrrev_b32_e32 v34, 2, v32                              // 00000000482C: 20444082
	v_lshlrev_b32_e32 v34, 5, v34                              // 000000004830: 24444485
	v_add_u32_e32 v33, v34, v33                                // 000000004834: 68424322
	v_and_b32_e32 v32, 3, v0                                   // 000000004838: 26400083
	v_and_b32_e32 v34, 1, v32                                  // 00000000483C: 26444081
	v_mul_i32_i24_e32 v34, 0x108, v34                          // 000000004840: 0C4444FF 00000108
	v_add_u32_e32 v33, v34, v33                                // 000000004848: 68424322
	v_and_b32_e32 v34, 2, v32                                  // 00000000484C: 26444082
	v_lshlrev_b32_e32 v34, 1, v34                              // 000000004850: 24444481
	v_add_u32_e32 v12, v34, v33                                // 000000004854: 68184322
	v_lshlrev_b32_e32 v12, 2, v12                              // 000000004858: 24181882
	s_mul_i32 s60, s46, 0x880                                  // 00000000485C: 923CFF2E 00000880
	v_add_u32_e32 v24, s60, v12                                // 000000004864: 6830183C
	v_lshrrev_b32_e32 v32, 5, v0                               // 000000004868: 20400085
	v_mul_i32_i24_e32 v15, 0x80, v32                           // 00000000486C: 0C1E40FF 00000080
	v_and_b32_e32 v32, 31, v0                                  // 000000004874: 2640009F
	v_and_b32_e32 v33, 7, v32                                  // 000000004878: 26424087
	v_and_b32_e32 v34, 1, v33                                  // 00000000487C: 26444281
	v_lshlrev_b32_e32 v34, 2, v34                              // 000000004880: 24444482
	v_add_u32_e32 v15, v34, v15                                // 000000004884: 681E1F22
	v_and_b32_e32 v34, 2, v33                                  // 000000004888: 26444282
	v_lshlrev_b32_e32 v34, 3, v34                              // 00000000488C: 24444483
	v_add_u32_e32 v15, v34, v15                                // 000000004890: 681E1F22
	v_and_b32_e32 v34, 4, v33                                  // 000000004894: 26444284
	v_lshlrev_b32_e32 v34, 1, v34                              // 000000004898: 24444481
	v_add_u32_e32 v15, v34, v15                                // 00000000489C: 681E1F22
	v_lshrrev_b32_e32 v33, 3, v32                              // 0000000048A0: 20424083
	v_and_b32_e32 v34, 1, v33                                  // 0000000048A4: 26444281
	v_lshlrev_b32_e32 v34, 1, v34                              // 0000000048A8: 24444481
	v_add_u32_e32 v15, v34, v15                                // 0000000048AC: 681E1F22
	v_and_b32_e32 v34, 2, v33                                  // 0000000048B0: 26444282
	v_lshrrev_b32_e32 v34, 1, v34                              // 0000000048B4: 20444481
	v_add_u32_e32 v15, v34, v15                                // 0000000048B8: 681E1F22
	s_mul_i32 s60, s46, 32                                     // 0000000048BC: 923CA02E
	v_add_u32_e32 v15, s60, v15                                // 0000000048C0: 681E1E3C
	v_lshlrev_b32_e32 v15, 2, v15                              // 0000000048C4: 241E1E82
	v_and_b32_e32 v32, 15, v0                                  // 0000000048C8: 2640008F
	v_and_b32_e32 v34, 1, v32                                  // 0000000048CC: 26444081
	v_mul_i32_i24_e32 v14, 0x108, v34                          // 0000000048D0: 0C1C44FF 00000108
	v_and_b32_e32 v34, 2, v32                                  // 0000000048D8: 26444082
	v_lshlrev_b32_e32 v34, 1, v34                              // 0000000048DC: 24444481
	v_add_u32_e32 v14, v34, v14                                // 0000000048E0: 681C1D22
	v_and_b32_e32 v34, 4, v32                                  // 0000000048E4: 26444084
	v_lshlrev_b32_e32 v34, 2, v34                              // 0000000048E8: 24444482
	v_add_u32_e32 v14, v34, v14                                // 0000000048EC: 681C1D22
	v_and_b32_e32 v34, 8, v32                                  // 0000000048F0: 26444088
	v_add_u32_e32 v14, v34, v14                                // 0000000048F4: 681C1D22
	v_lshrrev_b32_e32 v32, 4, v0                               // 0000000048F8: 20400084
	v_and_b32_e32 v34, 1, v32                                  // 0000000048FC: 26444081
	v_lshlrev_b32_e32 v34, 5, v34                              // 000000004900: 24444485
	v_add_u32_e32 v14, v34, v14                                // 000000004904: 681C1D22
	v_and_b32_e32 v33, 2, v32                                  // 000000004908: 26424082
	v_mul_i32_i24_e32 v34, 32, v33                             // 00000000490C: 0C4442A0
	v_mul_i32_i24_e32 v33, 0x110, v33                          // 000000004910: 0C4242FF 00000110
	v_add_u32_e32 v25, v33, v14                                // 000000004918: 68321D21
	v_add_u32_e32 v14, v34, v14                                // 00000000491C: 681C1D22
	v_lshlrev_b32_e32 v14, 2, v14                              // 000000004920: 241C1C82
	v_lshlrev_b32_e32 v25, 2, v25                              // 000000004924: 24323282
	s_and_b32 s60, 1, s46                                      // 000000004928: 863C2E81
	s_mul_i32 s60, s60, 0x200                                  // 00000000492C: 923CFF3C 00000200
	v_add_u32_e32 v25, s60, v25                                // 000000004934: 6832323C
	v_lshrrev_b32_e32 v32, 4, v0                               // 000000004938: 20400084
	v_mul_i32_i24_e32 v23, 4, v32                              // 00000000493C: 0C2E4084
	v_and_b32_e32 v33, 3, v0                                   // 000000004940: 26420083
	v_add_u32_e32 v23, v33, v23                                // 000000004944: 682E2F21
	v_lshlrev_b32_e32 v23, 2, v23                              // 000000004948: 242E2E82
	v_lshrrev_b32_e32 v32, 4, v0                               // 00000000494C: 20400084
	v_and_b32_e32 v33, 1, v32                                  // 000000004950: 26424081
	v_mul_i32_i24_e32 v21, 0x100, v33                          // 000000004954: 0C2A42FF 00000100
	v_and_b32_e32 v33, 2, v32                                  // 00000000495C: 26424082
	v_mul_i32_i24_e32 v33, 64, v33                             // 000000004960: 0C4242C0
	v_add_u32_e32 v21, v33, v21                                // 000000004964: 682A2B21
	v_and_b32_e32 v32, 15, v0                                  // 000000004968: 2640008F
	v_mul_i32_i24_e32 v33, 2, v32                              // 00000000496C: 0C424082
	v_add_u32_e32 v21, v33, v21                                // 000000004970: 682A2B21
	s_mul_i32 s60, s46, 32                                     // 000000004974: 923CA02E
	v_add_u32_e32 v21, s60, v21                                // 000000004978: 682A2A3C
	v_lshlrev_b32_e32 v21, 2, v21                              // 00000000497C: 242A2A82
	v_lshlrev_b32_e32 v22, 1, v0                               // 000000004980: 242C0081
	s_mul_i32 s60, s46, 0x200                                  // 000000004984: 923CFF2E 00000200
	v_add_u32_e32 v22, s60, v22                                // 00000000498C: 682C2C3C
	v_lshlrev_b32_e32 v22, 2, v22                              // 000000004990: 242C2C82
	v_lshrrev_b32_e32 v32, 5, v0                               // 000000004994: 20400085
	v_mul_i32_i24_e32 v19, 64, v32                             // 000000004998: 0C2640C0
	v_and_b32_e32 v32, 31, v0                                  // 00000000499C: 2640009F
	v_and_b32_e32 v32, 3, v32                                  // 0000000049A0: 26404083
	v_and_b32_e32 v33, 1, v32                                  // 0000000049A4: 26424081
	v_mul_i32_i24_e32 v33, 4, v33                              // 0000000049A8: 0C424284
	v_add_u32_e32 v19, v33, v19                                // 0000000049AC: 68262721
	v_and_b32_e32 v33, 2, v32                                  // 0000000049B0: 26424082
	v_mul_i32_i24_e32 v33, 0x44, v33                           // 0000000049B4: 0C4242FF 00000044
	v_add_u32_e32 v19, v33, v19                                // 0000000049BC: 68262721
	v_and_b32_e32 v32, 31, v0                                  // 0000000049C0: 2640009F
	v_lshrrev_b32_e32 v32, 2, v32                              // 0000000049C4: 20404082
	v_lshrrev_b32_e32 v34, 2, v32                              // 0000000049C8: 20444082
	v_mul_i32_i24_e32 v33, 16, v34                             // 0000000049CC: 0C424490
	v_add_u32_e32 v19, v33, v19                                // 0000000049D0: 68262721
	v_and_b32_e32 v33, 2, v32                                  // 0000000049D4: 26424082
	v_lshlrev_b32_e32 v33, 4, v33                              // 0000000049D8: 24424284
	v_add_u32_e32 v19, v33, v19                                // 0000000049DC: 68262721
	v_and_b32_e32 v33, 1, v32                                  // 0000000049E0: 26424081
	v_xor_b32_e32 v33, v34, v33                                // 0000000049E4: 2A424322
	v_mul_i32_i24_e32 v33, 8, v33                              // 0000000049E8: 0C424288
	v_add_u32_e32 v19, v33, v19                                // 0000000049EC: 68262721
	s_lshr_b32 s60, s46, 1                                     // 0000000049F0: 8F3C812E
	s_mul_i32 s60, s60, 0x6c0                                  // 0000000049F4: 923CFF3C 000006C0
	v_add_u32_e32 v19, s60, v19                                // 0000000049FC: 6826263C
	v_lshlrev_b32_e32 v19, 2, v19                              // 000000004A00: 24262682
	v_lshrrev_b32_e32 v32, 5, v0                               // 000000004A04: 20400085
	v_mul_i32_i24_e32 v20, 32, v32                             // 000000004A08: 0C2840A0
	v_and_b32_e32 v32, 31, v0                                  // 000000004A0C: 2640009F
	v_and_b32_e32 v32, 3, v32                                  // 000000004A10: 26404083
	v_and_b32_e32 v33, 1, v32                                  // 000000004A14: 26424081
	v_mul_i32_i24_e32 v33, 4, v33                              // 000000004A18: 0C424284
	v_add_u32_e32 v20, v33, v20                                // 000000004A1C: 68282921
	v_and_b32_e32 v33, 2, v32                                  // 000000004A20: 26424082
	v_lshrrev_b32_e32 v33, 1, v33                              // 000000004A24: 20424281
	v_add_u32_e32 v20, v33, v20                                // 000000004A28: 68282921
	v_and_b32_e32 v32, 31, v0                                  // 000000004A2C: 2640009F
	v_lshrrev_b32_e32 v32, 2, v32                              // 000000004A30: 20404082
	v_and_b32_e32 v34, 1, v32                                  // 000000004A34: 26444081
	v_mul_i32_i24_e32 v33, 16, v34                             // 000000004A38: 0C424490
	v_add_u32_e32 v20, v33, v20                                // 000000004A3C: 68282921
	v_and_b32_e32 v33, 2, v32                                  // 000000004A40: 26424082
	v_add_u32_e32 v20, v33, v20                                // 000000004A44: 68282921
	v_lshrrev_b32_e32 v33, 2, v32                              // 000000004A48: 20424082
	v_xor_b32_e32 v33, v34, v33                                // 000000004A4C: 2A424322
	v_mul_i32_i24_e32 v33, 8, v33                              // 000000004A50: 0C424288
	v_add_u32_e32 v20, v33, v20                                // 000000004A54: 68282921
	s_and_b32 s60, 1, s46                                      // 000000004A58: 863C2E81
	s_mul_i32 s60, s60, 64                                     // 000000004A5C: 923CC03C
	s_lshr_b32 s61, s46, 1                                     // 000000004A60: 8F3D812E
	s_mul_i32 s61, s61, 0x120                                  // 000000004A64: 923DFF3D 00000120
	s_add_u32 s60, s60, s61                                    // 000000004A6C: 803C3D3C
	v_add_u32_e32 v20, s60, v20                                // 000000004A70: 6828283C
	v_lshlrev_b32_e32 v20, 2, v20                              // 000000004A74: 24282882
	buffer_load_dword v180, v1, s[12:15], 0 idxen              // 000000004A78: E0502000 8003B401
	buffer_load_dword v181, v2, s[12:15], 0 idxen              // 000000004A80: E0502000 8003B502
	s_mul_i32 s60, 4, s6                                       // 000000004A88: 923C0684
	s_cmp_lt_i32 0, s72                                        // 000000004A8C: BF044880
	s_cselect_b32 s60, s60, 0                                  // 000000004A90: 853C803C
	v_add_u32_e32 v1, s60, v1                                  // 000000004A94: 6802023C
	v_add_u32_e32 v2, s60, v2                                  // 000000004A98: 6804043C
	buffer_load_dword v182, v1, s[12:15], 0 idxen              // 000000004A9C: E0502000 8003B601
	buffer_load_dword v183, v2, s[12:15], 0 idxen              // 000000004AA4: E0502000 8003B702
	s_mul_i32 s60, 4, s6                                       // 000000004AAC: 923C0684
	s_cmp_lt_i32 0, s72                                        // 000000004AB0: BF044880
	s_cselect_b32 s60, s60, 0                                  // 000000004AB4: 853C803C
	v_add_u32_e32 v1, s60, v1                                  // 000000004AB8: 6802023C
	v_add_u32_e32 v2, s60, v2                                  // 000000004ABC: 6804043C
	buffer_load_dword v184, v1, s[12:15], 0 idxen              // 000000004AC0: E0502000 8003B801
	buffer_load_dword v185, v2, s[12:15], 0 idxen              // 000000004AC8: E0502000 8003B902
	s_mul_i32 s60, 4, s6                                       // 000000004AD0: 923C0684
	s_cmp_lt_i32 0, s72                                        // 000000004AD4: BF044880
	s_cselect_b32 s60, s60, 0                                  // 000000004AD8: 853C803C
	v_add_u32_e32 v1, s60, v1                                  // 000000004ADC: 6802023C
	v_add_u32_e32 v2, s60, v2                                  // 000000004AE0: 6804043C
	buffer_load_dword v186, v1, s[12:15], 0 idxen              // 000000004AE4: E0502000 8003BA01
	buffer_load_dword v187, v2, s[12:15], 0 idxen              // 000000004AEC: E0502000 8003BB02
	s_mul_i32 s60, 4, s6                                       // 000000004AF4: 923C0684
	s_cmp_lt_i32 1, s72                                        // 000000004AF8: BF044881
	s_cselect_b32 s60, s60, 0                                  // 000000004AFC: 853C803C
	v_add_u32_e32 v1, s60, v1                                  // 000000004B00: 6802023C
	v_add_u32_e32 v2, s60, v2                                  // 000000004B04: 6804043C
	buffer_load_dword v188, v1, s[12:15], 0 idxen              // 000000004B08: E0502000 8003BC01
	buffer_load_dword v189, v2, s[12:15], 0 idxen              // 000000004B10: E0502000 8003BD02
	s_mul_i32 s60, 4, s6                                       // 000000004B18: 923C0684
	s_cmp_lt_i32 1, s72                                        // 000000004B1C: BF044881
	s_cselect_b32 s60, s60, 0                                  // 000000004B20: 853C803C
	v_add_u32_e32 v1, s60, v1                                  // 000000004B24: 6802023C
	v_add_u32_e32 v2, s60, v2                                  // 000000004B28: 6804043C
	buffer_load_dword v190, v1, s[12:15], 0 idxen              // 000000004B2C: E0502000 8003BE01
	buffer_load_dword v191, v2, s[12:15], 0 idxen              // 000000004B34: E0502000 8003BF02
	s_mul_i32 s60, 4, s6                                       // 000000004B3C: 923C0684
	s_cmp_lt_i32 1, s72                                        // 000000004B40: BF044881
	s_cselect_b32 s60, s60, 0                                  // 000000004B44: 853C803C
	v_add_u32_e32 v1, s60, v1                                  // 000000004B48: 6802023C
	v_add_u32_e32 v2, s60, v2                                  // 000000004B4C: 6804043C
	buffer_load_dword v192, v1, s[12:15], 0 idxen              // 000000004B50: E0502000 8003C001
	buffer_load_dword v193, v2, s[12:15], 0 idxen              // 000000004B58: E0502000 8003C102
	s_mul_i32 s60, 4, s6                                       // 000000004B60: 923C0684
	s_cmp_lt_i32 1, s72                                        // 000000004B64: BF044881
	s_cselect_b32 s60, s60, 0                                  // 000000004B68: 853C803C
	v_add_u32_e32 v1, s60, v1                                  // 000000004B6C: 6802023C
	v_add_u32_e32 v2, s60, v2                                  // 000000004B70: 6804043C
	buffer_load_dword v194, v1, s[12:15], 0 idxen              // 000000004B74: E0502000 8003C201
	buffer_load_dword v195, v2, s[12:15], 0 idxen              // 000000004B7C: E0502000 8003C302
	s_mul_i32 s60, 4, s6                                       // 000000004B84: 923C0684
	s_cmp_lt_i32 2, s72                                        // 000000004B88: BF044882
	s_cselect_b32 s60, s60, 0                                  // 000000004B8C: 853C803C
	v_add_u32_e32 v1, s60, v1                                  // 000000004B90: 6802023C
	v_add_u32_e32 v2, s60, v2                                  // 000000004B94: 6804043C
	buffer_load_dword v196, v1, s[12:15], 0 idxen              // 000000004B98: E0502000 8003C401
	buffer_load_dword v197, v2, s[12:15], 0 idxen              // 000000004BA0: E0502000 8003C502
	s_mul_i32 s60, 4, s6                                       // 000000004BA8: 923C0684
	s_cmp_lt_i32 2, s72                                        // 000000004BAC: BF044882
	s_cselect_b32 s60, s60, 0                                  // 000000004BB0: 853C803C
	v_add_u32_e32 v1, s60, v1                                  // 000000004BB4: 6802023C
	v_add_u32_e32 v2, s60, v2                                  // 000000004BB8: 6804043C
	buffer_load_dword v198, v1, s[12:15], 0 idxen              // 000000004BBC: E0502000 8003C601
	buffer_load_dword v199, v2, s[12:15], 0 idxen              // 000000004BC4: E0502000 8003C702
	s_mul_i32 s60, 4, s6                                       // 000000004BCC: 923C0684
	s_cmp_lt_i32 2, s72                                        // 000000004BD0: BF044882
	s_cselect_b32 s60, s60, 0                                  // 000000004BD4: 853C803C
	v_add_u32_e32 v1, s60, v1                                  // 000000004BD8: 6802023C
	v_add_u32_e32 v2, s60, v2                                  // 000000004BDC: 6804043C
	buffer_load_dword v200, v1, s[12:15], 0 idxen              // 000000004BE0: E0502000 8003C801
	buffer_load_dword v201, v2, s[12:15], 0 idxen              // 000000004BE8: E0502000 8003C902
	s_mul_i32 s60, 4, s6                                       // 000000004BF0: 923C0684
	s_cmp_lt_i32 2, s72                                        // 000000004BF4: BF044882
	s_cselect_b32 s60, s60, 0                                  // 000000004BF8: 853C803C
	v_add_u32_e32 v1, s60, v1                                  // 000000004BFC: 6802023C
	v_add_u32_e32 v2, s60, v2                                  // 000000004C00: 6804043C
	buffer_load_dword v202, v1, s[12:15], 0 idxen              // 000000004C04: E0502000 8003CA01
	buffer_load_dword v203, v2, s[12:15], 0 idxen              // 000000004C0C: E0502000 8003CB02
	s_mul_i32 s60, 4, s6                                       // 000000004C14: 923C0684
	s_cmp_lt_i32 3, s72                                        // 000000004C18: BF044883
	s_cselect_b32 s60, s60, 0                                  // 000000004C1C: 853C803C
	v_add_u32_e32 v1, s60, v1                                  // 000000004C20: 6802023C
	v_add_u32_e32 v2, s60, v2                                  // 000000004C24: 6804043C
	s_waitcnt vmcnt(16) lgkmcnt(0)                             // 000000004C28: BF8C4070
	s_barrier                                                  // 000000004C2C: BF8A0000
	s_cmp_lt_i32 0, s72                                        // 000000004C30: BF044880
	s_cbranch_scc1 label_0316                                  // 000000004C34: BF850008
	v_mov_b32_e32 v180, 0                                      // 000000004C38: 7F680280
	v_mov_b32_e32 v181, 0                                      // 000000004C3C: 7F6A0280
	v_mov_b32_e32 v182, 0                                      // 000000004C40: 7F6C0280
	v_mov_b32_e32 v183, 0                                      // 000000004C44: 7F6E0280
	v_mov_b32_e32 v184, 0                                      // 000000004C48: 7F700280
	v_mov_b32_e32 v185, 0                                      // 000000004C4C: 7F720280
	v_mov_b32_e32 v186, 0                                      // 000000004C50: 7F740280
	v_mov_b32_e32 v187, 0                                      // 000000004C54: 7F760280

0000000000004c58 <label_0316>:
	v_perm_b32 v204, v181, v180, s63                           // 000000004C58: D1ED00CC 00FF69B5
	v_perm_b32 v205, v181, v180, s64                           // 000000004C60: D1ED00CD 010369B5
	v_perm_b32 v206, v183, v182, s63                           // 000000004C68: D1ED00CE 00FF6DB7
	v_perm_b32 v207, v183, v182, s64                           // 000000004C70: D1ED00CF 01036DB7
	v_perm_b32 v208, v185, v184, s63                           // 000000004C78: D1ED00D0 00FF71B9
	v_perm_b32 v209, v185, v184, s64                           // 000000004C80: D1ED00D1 010371B9
	v_perm_b32 v210, v187, v186, s63                           // 000000004C88: D1ED00D2 00FF75BB
	v_perm_b32 v211, v187, v186, s64                           // 000000004C90: D1ED00D3 010375BB
	ds_write_b32 v15, v204 offset:8704                         // 000000004C98: D81A2200 0000CC0F
	ds_write_b32 v15, v205 offset:9760                         // 000000004CA0: D81A2620 0000CD0F
	ds_write_b32 v15, v206 offset:10880                        // 000000004CA8: D81A2A80 0000CE0F
	ds_write_b32 v15, v207 offset:11936                        // 000000004CB0: D81A2EA0 0000CF0F
	ds_write_b32 v15, v208 offset:13056                        // 000000004CB8: D81A3300 0000D00F
	ds_write_b32 v15, v209 offset:14112                        // 000000004CC0: D81A3720 0000D10F
	ds_write_b32 v15, v210 offset:15232                        // 000000004CC8: D81A3B80 0000D20F
	ds_write_b32 v15, v211 offset:16288                        // 000000004CD0: D81A3FA0 0000D30F
	ds_write_b32 v13, v180                                     // 000000004CD8: D81A0000 0000B40D
	ds_write_b32 v13, v181 offset:1056                         // 000000004CE0: D81A0420 0000B50D
	ds_write_b32 v13, v182 offset:2176                         // 000000004CE8: D81A0880 0000B60D
	ds_write_b32 v13, v183 offset:3232                         // 000000004CF0: D81A0CA0 0000B70D
	ds_write_b32 v13, v184 offset:4352                         // 000000004CF8: D81A1100 0000B80D
	ds_write_b32 v13, v185 offset:5408                         // 000000004D00: D81A1520 0000B90D
	ds_write_b32 v13, v186 offset:6528                         // 000000004D08: D81A1980 0000BA0D
	ds_write_b32 v13, v187 offset:7584                         // 000000004D10: D81A1DA0 0000BB0D
	buffer_load_dword v180, v228, s[16:19], 0 idxen            // 000000004D18: E0502000 8004B4E4
	buffer_load_dword v181, v229, s[16:19], 0 idxen            // 000000004D20: E0502000 8004B5E5
	s_mul_i32 s60, 4, s7                                       // 000000004D28: 923C0784
	s_cmp_lt_i32 0, s72                                        // 000000004D2C: BF044880
	s_cselect_b32 s60, s60, 0                                  // 000000004D30: 853C803C
	v_add_u32_e32 v228, s60, v228                              // 000000004D34: 69C9C83C
	v_add_u32_e32 v229, s60, v229                              // 000000004D38: 69CBCA3C
	buffer_load_dword v182, v228, s[16:19], 0 idxen            // 000000004D3C: E0502000 8004B6E4
	buffer_load_dword v183, v229, s[16:19], 0 idxen            // 000000004D44: E0502000 8004B7E5
	s_mul_i32 s60, 4, s7                                       // 000000004D4C: 923C0784
	s_cmp_lt_i32 0, s72                                        // 000000004D50: BF044880
	s_cselect_b32 s60, s60, 0                                  // 000000004D54: 853C803C
	v_add_u32_e32 v228, s60, v228                              // 000000004D58: 69C9C83C
	v_add_u32_e32 v229, s60, v229                              // 000000004D5C: 69CBCA3C
	buffer_load_dword v184, v228, s[16:19], 0 idxen            // 000000004D60: E0502000 8004B8E4
	buffer_load_dword v185, v229, s[16:19], 0 idxen            // 000000004D68: E0502000 8004B9E5
	s_mul_i32 s60, 4, s7                                       // 000000004D70: 923C0784
	s_cmp_lt_i32 0, s72                                        // 000000004D74: BF044880
	s_cselect_b32 s60, s60, 0                                  // 000000004D78: 853C803C
	v_add_u32_e32 v228, s60, v228                              // 000000004D7C: 69C9C83C
	v_add_u32_e32 v229, s60, v229                              // 000000004D80: 69CBCA3C
	buffer_load_dword v186, v228, s[16:19], 0 idxen            // 000000004D84: E0502000 8004BAE4
	buffer_load_dword v187, v229, s[16:19], 0 idxen            // 000000004D8C: E0502000 8004BBE5
	s_mul_i32 s60, 4, s7                                       // 000000004D94: 923C0784
	s_cmp_lt_i32 1, s72                                        // 000000004D98: BF044881
	s_cselect_b32 s60, s60, 0                                  // 000000004D9C: 853C803C
	v_add_u32_e32 v228, s60, v228                              // 000000004DA0: 69C9C83C
	v_add_u32_e32 v229, s60, v229                              // 000000004DA4: 69CBCA3C
	s_waitcnt lgkmcnt(0)                                       // 000000004DA8: BF8CC07F
	s_barrier                                                  // 000000004DAC: BF8A0000
	ds_read_b128 a[24:27], v25 offset:8704                     // 000000004DB0: DBFE2200 18000019
	ds_read_b128 a[28:31], v25 offset:8960                     // 000000004DB8: DBFE2300 1C000019
	ds_read_b128 a[32:35], v25 offset:13056                    // 000000004DC0: DBFE3300 20000019
	ds_read_b128 a[36:39], v25 offset:13312                    // 000000004DC8: DBFE3400 24000019
	ds_read_b128 a[0:3], v24                                   // 000000004DD0: DBFE0000 00000018
	ds_read_b128 a[4:7], v24 offset:512                        // 000000004DD8: DBFE0200 04000018
	s_waitcnt vmcnt(16) lgkmcnt(0)                             // 000000004DE0: BF8C4070
	s_barrier                                                  // 000000004DE4: BF8A0000
	s_cmp_lt_i32 1, s72                                        // 000000004DE8: BF044881
	s_cbranch_scc1 label_0384                                  // 000000004DEC: BF850008
	v_mov_b32_e32 v188, 0                                      // 000000004DF0: 7F780280
	v_mov_b32_e32 v189, 0                                      // 000000004DF4: 7F7A0280
	v_mov_b32_e32 v190, 0                                      // 000000004DF8: 7F7C0280
	v_mov_b32_e32 v191, 0                                      // 000000004DFC: 7F7E0280
	v_mov_b32_e32 v192, 0                                      // 000000004E00: 7F800280
	v_mov_b32_e32 v193, 0                                      // 000000004E04: 7F820280
	v_mov_b32_e32 v194, 0                                      // 000000004E08: 7F840280
	v_mov_b32_e32 v195, 0                                      // 000000004E0C: 7F860280

0000000000004e10 <label_0384>:
	v_perm_b32 v204, v189, v188, s63                           // 000000004E10: D1ED00CC 00FF79BD
	v_perm_b32 v205, v189, v188, s64                           // 000000004E18: D1ED00CD 010379BD
	v_perm_b32 v206, v191, v190, s63                           // 000000004E20: D1ED00CE 00FF7DBF
	v_perm_b32 v207, v191, v190, s64                           // 000000004E28: D1ED00CF 01037DBF
	v_perm_b32 v208, v193, v192, s63                           // 000000004E30: D1ED00D0 00FF81C1
	v_perm_b32 v209, v193, v192, s64                           // 000000004E38: D1ED00D1 010381C1
	v_perm_b32 v210, v195, v194, s63                           // 000000004E40: D1ED00D2 00FF85C3
	v_perm_b32 v211, v195, v194, s64                           // 000000004E48: D1ED00D3 010385C3
	ds_write_b32 v15, v204 offset:8704                         // 000000004E50: D81A2200 0000CC0F
	ds_write_b32 v15, v205 offset:9760                         // 000000004E58: D81A2620 0000CD0F
	ds_write_b32 v15, v206 offset:10880                        // 000000004E60: D81A2A80 0000CE0F
	ds_write_b32 v15, v207 offset:11936                        // 000000004E68: D81A2EA0 0000CF0F
	ds_write_b32 v15, v208 offset:13056                        // 000000004E70: D81A3300 0000D00F
	ds_write_b32 v15, v209 offset:14112                        // 000000004E78: D81A3720 0000D10F
	ds_write_b32 v15, v210 offset:15232                        // 000000004E80: D81A3B80 0000D20F
	ds_write_b32 v15, v211 offset:16288                        // 000000004E88: D81A3FA0 0000D30F
	ds_write_b32 v13, v188                                     // 000000004E90: D81A0000 0000BC0D
	ds_write_b32 v13, v189 offset:1056                         // 000000004E98: D81A0420 0000BD0D
	ds_write_b32 v13, v190 offset:2176                         // 000000004EA0: D81A0880 0000BE0D
	ds_write_b32 v13, v191 offset:3232                         // 000000004EA8: D81A0CA0 0000BF0D
	ds_write_b32 v13, v192 offset:4352                         // 000000004EB0: D81A1100 0000C00D
	ds_write_b32 v13, v193 offset:5408                         // 000000004EB8: D81A1520 0000C10D
	ds_write_b32 v13, v194 offset:6528                         // 000000004EC0: D81A1980 0000C20D
	ds_write_b32 v13, v195 offset:7584                         // 000000004EC8: D81A1DA0 0000C30D
	buffer_load_dword v188, v228, s[16:19], 0 idxen            // 000000004ED0: E0502000 8004BCE4
	buffer_load_dword v189, v229, s[16:19], 0 idxen            // 000000004ED8: E0502000 8004BDE5
	s_mul_i32 s60, 4, s7                                       // 000000004EE0: 923C0784
	s_cmp_lt_i32 1, s72                                        // 000000004EE4: BF044881
	s_cselect_b32 s60, s60, 0                                  // 000000004EE8: 853C803C
	v_add_u32_e32 v228, s60, v228                              // 000000004EEC: 69C9C83C
	v_add_u32_e32 v229, s60, v229                              // 000000004EF0: 69CBCA3C
	buffer_load_dword v190, v228, s[16:19], 0 idxen            // 000000004EF4: E0502000 8004BEE4
	buffer_load_dword v191, v229, s[16:19], 0 idxen            // 000000004EFC: E0502000 8004BFE5
	s_mul_i32 s60, 4, s7                                       // 000000004F04: 923C0784
	s_cmp_lt_i32 1, s72                                        // 000000004F08: BF044881
	s_cselect_b32 s60, s60, 0                                  // 000000004F0C: 853C803C
	v_add_u32_e32 v228, s60, v228                              // 000000004F10: 69C9C83C
	v_add_u32_e32 v229, s60, v229                              // 000000004F14: 69CBCA3C
	buffer_load_dword v192, v228, s[16:19], 0 idxen            // 000000004F18: E0502000 8004C0E4
	buffer_load_dword v193, v229, s[16:19], 0 idxen            // 000000004F20: E0502000 8004C1E5
	s_mul_i32 s60, 4, s7                                       // 000000004F28: 923C0784
	s_cmp_lt_i32 1, s72                                        // 000000004F2C: BF044881
	s_cselect_b32 s60, s60, 0                                  // 000000004F30: 853C803C
	v_add_u32_e32 v228, s60, v228                              // 000000004F34: 69C9C83C
	v_add_u32_e32 v229, s60, v229                              // 000000004F38: 69CBCA3C
	buffer_load_dword v194, v228, s[16:19], 0 idxen            // 000000004F3C: E0502000 8004C2E4
	buffer_load_dword v195, v229, s[16:19], 0 idxen            // 000000004F44: E0502000 8004C3E5
	s_mul_i32 s60, 4, s7                                       // 000000004F4C: 923C0784
	s_cmp_lt_i32 2, s72                                        // 000000004F50: BF044882
	s_cselect_b32 s60, s60, 0                                  // 000000004F54: 853C803C
	v_add_u32_e32 v228, s60, v228                              // 000000004F58: 69C9C83C
	v_add_u32_e32 v229, s60, v229                              // 000000004F5C: 69CBCA3C
	s_waitcnt lgkmcnt(0)                                       // 000000004F60: BF8CC07F
	s_barrier                                                  // 000000004F64: BF8A0000
	ds_read_b128 a[40:43], v25 offset:8704                     // 000000004F68: DBFE2200 28000019
	ds_read_b128 a[44:47], v25 offset:8960                     // 000000004F70: DBFE2300 2C000019
	ds_read_b128 a[48:51], v25 offset:13056                    // 000000004F78: DBFE3300 30000019
	ds_read_b128 a[52:55], v25 offset:13312                    // 000000004F80: DBFE3400 34000019
	ds_read_b128 a[8:11], v24                                  // 000000004F88: DBFE0000 08000018
	ds_read_b128 a[12:15], v24 offset:512                      // 000000004F90: DBFE0200 0C000018
	s_waitcnt vmcnt(16) lgkmcnt(0)                             // 000000004F98: BF8C4070
	s_barrier                                                  // 000000004F9C: BF8A0000
	s_cmp_lt_i32 2, s72                                        // 000000004FA0: BF044882
	s_cbranch_scc1 label_03F2                                  // 000000004FA4: BF850008
	v_mov_b32_e32 v196, 0                                      // 000000004FA8: 7F880280
	v_mov_b32_e32 v197, 0                                      // 000000004FAC: 7F8A0280
	v_mov_b32_e32 v198, 0                                      // 000000004FB0: 7F8C0280
	v_mov_b32_e32 v199, 0                                      // 000000004FB4: 7F8E0280
	v_mov_b32_e32 v200, 0                                      // 000000004FB8: 7F900280
	v_mov_b32_e32 v201, 0                                      // 000000004FBC: 7F920280
	v_mov_b32_e32 v202, 0                                      // 000000004FC0: 7F940280
	v_mov_b32_e32 v203, 0                                      // 000000004FC4: 7F960280

0000000000004fc8 <label_03F2>:
	v_perm_b32 v204, v197, v196, s63                           // 000000004FC8: D1ED00CC 00FF89C5
	v_perm_b32 v205, v197, v196, s64                           // 000000004FD0: D1ED00CD 010389C5
	v_perm_b32 v206, v199, v198, s63                           // 000000004FD8: D1ED00CE 00FF8DC7
	v_perm_b32 v207, v199, v198, s64                           // 000000004FE0: D1ED00CF 01038DC7
	v_perm_b32 v208, v201, v200, s63                           // 000000004FE8: D1ED00D0 00FF91C9
	v_perm_b32 v209, v201, v200, s64                           // 000000004FF0: D1ED00D1 010391C9
	v_perm_b32 v210, v203, v202, s63                           // 000000004FF8: D1ED00D2 00FF95CB
	v_perm_b32 v211, v203, v202, s64                           // 000000005000: D1ED00D3 010395CB
	ds_write_b32 v15, v204 offset:8704                         // 000000005008: D81A2200 0000CC0F
	ds_write_b32 v15, v205 offset:9760                         // 000000005010: D81A2620 0000CD0F
	ds_write_b32 v15, v206 offset:10880                        // 000000005018: D81A2A80 0000CE0F
	ds_write_b32 v15, v207 offset:11936                        // 000000005020: D81A2EA0 0000CF0F
	ds_write_b32 v15, v208 offset:13056                        // 000000005028: D81A3300 0000D00F
	ds_write_b32 v15, v209 offset:14112                        // 000000005030: D81A3720 0000D10F
	ds_write_b32 v15, v210 offset:15232                        // 000000005038: D81A3B80 0000D20F
	ds_write_b32 v15, v211 offset:16288                        // 000000005040: D81A3FA0 0000D30F
	ds_write_b32 v13, v196                                     // 000000005048: D81A0000 0000C40D
	ds_write_b32 v13, v197 offset:1056                         // 000000005050: D81A0420 0000C50D
	ds_write_b32 v13, v198 offset:2176                         // 000000005058: D81A0880 0000C60D
	ds_write_b32 v13, v199 offset:3232                         // 000000005060: D81A0CA0 0000C70D
	ds_write_b32 v13, v200 offset:4352                         // 000000005068: D81A1100 0000C80D
	ds_write_b32 v13, v201 offset:5408                         // 000000005070: D81A1520 0000C90D
	ds_write_b32 v13, v202 offset:6528                         // 000000005078: D81A1980 0000CA0D
	ds_write_b32 v13, v203 offset:7584                         // 000000005080: D81A1DA0 0000CB0D
	buffer_load_dword v196, v228, s[16:19], 0 idxen            // 000000005088: E0502000 8004C4E4
	buffer_load_dword v197, v229, s[16:19], 0 idxen            // 000000005090: E0502000 8004C5E5
	s_mul_i32 s60, 4, s7                                       // 000000005098: 923C0784
	s_cmp_lt_i32 2, s72                                        // 00000000509C: BF044882
	s_cselect_b32 s60, s60, 0                                  // 0000000050A0: 853C803C
	v_add_u32_e32 v228, s60, v228                              // 0000000050A4: 69C9C83C
	v_add_u32_e32 v229, s60, v229                              // 0000000050A8: 69CBCA3C
	buffer_load_dword v198, v228, s[16:19], 0 idxen            // 0000000050AC: E0502000 8004C6E4
	buffer_load_dword v199, v229, s[16:19], 0 idxen            // 0000000050B4: E0502000 8004C7E5
	s_mul_i32 s60, 4, s7                                       // 0000000050BC: 923C0784
	s_cmp_lt_i32 2, s72                                        // 0000000050C0: BF044882
	s_cselect_b32 s60, s60, 0                                  // 0000000050C4: 853C803C
	v_add_u32_e32 v228, s60, v228                              // 0000000050C8: 69C9C83C
	v_add_u32_e32 v229, s60, v229                              // 0000000050CC: 69CBCA3C
	buffer_load_dword v200, v228, s[16:19], 0 idxen            // 0000000050D0: E0502000 8004C8E4
	buffer_load_dword v201, v229, s[16:19], 0 idxen            // 0000000050D8: E0502000 8004C9E5
	s_mul_i32 s60, 4, s7                                       // 0000000050E0: 923C0784
	s_cmp_lt_i32 2, s72                                        // 0000000050E4: BF044882
	s_cselect_b32 s60, s60, 0                                  // 0000000050E8: 853C803C
	v_add_u32_e32 v228, s60, v228                              // 0000000050EC: 69C9C83C
	v_add_u32_e32 v229, s60, v229                              // 0000000050F0: 69CBCA3C
	buffer_load_dword v202, v228, s[16:19], 0 idxen            // 0000000050F4: E0502000 8004CAE4
	buffer_load_dword v203, v229, s[16:19], 0 idxen            // 0000000050FC: E0502000 8004CBE5
	s_mul_i32 s60, 4, s7                                       // 000000005104: 923C0784
	s_cmp_lt_i32 3, s72                                        // 000000005108: BF044883
	s_cselect_b32 s60, s60, 0                                  // 00000000510C: 853C803C
	v_add_u32_e32 v228, s60, v228                              // 000000005110: 69C9C83C
	v_add_u32_e32 v229, s60, v229                              // 000000005114: 69CBCA3C
	s_waitcnt lgkmcnt(0)                                       // 000000005118: BF8CC07F
	s_barrier                                                  // 00000000511C: BF8A0000
	ds_read_b128 a[56:59], v25 offset:8704                     // 000000005120: DBFE2200 38000019
	ds_read_b128 a[60:63], v25 offset:8960                     // 000000005128: DBFE2300 3C000019
	ds_read_b128 a[64:67], v25 offset:13056                    // 000000005130: DBFE3300 40000019
	ds_read_b128 a[68:71], v25 offset:13312                    // 000000005138: DBFE3400 44000019
	ds_read_b128 a[16:19], v24                                 // 000000005140: DBFE0000 10000018
	ds_read_b128 a[20:23], v24 offset:512                      // 000000005148: DBFE0200 14000018
	s_waitcnt vmcnt(16) lgkmcnt(0)                             // 000000005150: BF8C4070
	s_barrier                                                  // 000000005154: BF8A0000
	s_cmp_lt_i32 0, s72                                        // 000000005158: BF044880
	s_cbranch_scc1 label_0460                                  // 00000000515C: BF850008
	v_mov_b32_e32 v180, 0                                      // 000000005160: 7F680280
	v_mov_b32_e32 v181, 0                                      // 000000005164: 7F6A0280
	v_mov_b32_e32 v182, 0                                      // 000000005168: 7F6C0280
	v_mov_b32_e32 v183, 0                                      // 00000000516C: 7F6E0280
	v_mov_b32_e32 v184, 0                                      // 000000005170: 7F700280
	v_mov_b32_e32 v185, 0                                      // 000000005174: 7F720280
	v_mov_b32_e32 v186, 0                                      // 000000005178: 7F740280
	v_mov_b32_e32 v187, 0                                      // 00000000517C: 7F760280

0000000000005180 <label_0460>:
	ds_write_b32 v13, v180                                     // 000000005180: D81A0000 0000B40D
	ds_write_b32 v13, v181 offset:1056                         // 000000005188: D81A0420 0000B50D
	ds_write_b32 v13, v182 offset:2176                         // 000000005190: D81A0880 0000B60D
	ds_write_b32 v13, v183 offset:3232                         // 000000005198: D81A0CA0 0000B70D
	ds_write_b32 v13, v184 offset:4352                         // 0000000051A0: D81A1100 0000B80D
	ds_write_b32 v13, v185 offset:5408                         // 0000000051A8: D81A1520 0000B90D
	ds_write_b32 v13, v186 offset:6528                         // 0000000051B0: D81A1980 0000BA0D
	ds_write_b32 v13, v187 offset:7584                         // 0000000051B8: D81A1DA0 0000BB0D
	s_mov_b32 s71, s5                                          // 0000000051C0: BEC70005
	v_lshrrev_b32_e32 v32, 4, v0                               // 0000000051C4: 20400084
	v_and_b32_e32 v33, 1, v32                                  // 0000000051C8: 26424081
	v_lshlrev_b32_e32 v33, 1, v33                              // 0000000051CC: 24424281
	v_mul_i32_i24_e32 v33, s71, v33                            // 0000000051D0: 0C424247
	v_and_b32_e32 v34, 2, v32                                  // 0000000051D4: 26444082
	v_lshlrev_b32_e32 v34, 5, v34                              // 0000000051D8: 24444485
	v_add_u32_e32 v33, v34, v33                                // 0000000051DC: 68424322
	v_and_b32_e32 v32, 15, v0                                  // 0000000051E0: 2640008F
	v_lshlrev_b32_e32 v32, 2, v32                              // 0000000051E4: 24404082
	v_add_u32_e32 v1, v32, v33                                 // 0000000051E8: 68024320
	s_mul_i32 s60, s46, s71                                    // 0000000051EC: 923C472E
	s_mul_i32 s60, s60, 4                                      // 0000000051F0: 923C843C
	v_add_u32_e32 v1, s60, v1                                  // 0000000051F4: 6802023C
	v_add_u32_e32 v2, s71, v1                                  // 0000000051F8: 68040247
	s_mul_i32 s60, 16, s71                                     // 0000000051FC: 923C4790
	v_add_u32_e32 v3, s60, v1                                  // 000000005200: 6806023C
	v_add_u32_e32 v4, s60, v2                                  // 000000005204: 6808043C
	s_mov_b32 s71, s51                                         // 000000005208: BEC70033
	v_lshrrev_b32_e32 v32, 4, v0                               // 00000000520C: 20400084
	v_and_b32_e32 v33, 1, v32                                  // 000000005210: 26424081
	v_lshlrev_b32_e32 v33, 1, v33                              // 000000005214: 24424281
	v_mul_i32_i24_e32 v33, s71, v33                            // 000000005218: 0C424247
	v_and_b32_e32 v34, 2, v32                                  // 00000000521C: 26444082
	v_lshlrev_b32_e32 v34, 5, v34                              // 000000005220: 24444485
	v_add_u32_e32 v33, v34, v33                                // 000000005224: 68424322
	v_and_b32_e32 v32, 15, v0                                  // 000000005228: 2640008F
	v_lshlrev_b32_e32 v32, 2, v32                              // 00000000522C: 24404082
	v_add_u32_e32 v228, v32, v33                               // 000000005230: 69C84320
	s_mul_i32 s60, s46, s71                                    // 000000005234: 923C472E
	s_mul_i32 s60, s60, 4                                      // 000000005238: 923C843C
	v_add_u32_e32 v228, s60, v228                              // 00000000523C: 69C9C83C
	v_add_u32_e32 v229, s71, v228                              // 000000005240: 69CBC847
	s_mul_i32 s60, 16, s71                                     // 000000005244: 923C4790
	v_add_u32_e32 v230, s60, v228                              // 000000005248: 69CDC83C
	v_add_u32_e32 v231, s60, v229                              // 00000000524C: 69CFCA3C
	v_lshrrev_b32_e32 v1, 2, v1                                // 000000005250: 20020282
	v_lshrrev_b32_e32 v2, 2, v2                                // 000000005254: 20040482
	;; [unrolled: 1-line block ×3, first 2 shown]
	v_lshrrev_b32_e32 v4, 2, v4                                // 00000000525C: 20080882
	v_lshrrev_b32_e32 v228, 2, v228                            // 000000005260: 21C9C882
	v_lshrrev_b32_e32 v229, 2, v229                            // 000000005264: 21CBCA82
	v_lshrrev_b32_e32 v230, 2, v230                            // 000000005268: 21CDCC82
	v_lshrrev_b32_e32 v231, 2, v231                            // 00000000526C: 21CFCE82
	buffer_load_dword v36, v1, s[8:11], 0 idxen                // 000000005270: E0502000 80022401
	buffer_load_dword v37, v2, s[8:11], 0 idxen                // 000000005278: E0502000 80022502
	;; [unrolled: 1-line block ×4, first 2 shown]
	buffer_load_dword v44, v228, s[20:23], 0 idxen             // 000000005290: E0502000 80052CE4
	buffer_load_dword v45, v229, s[20:23], 0 idxen             // 000000005298: E0502000 80052DE5
	buffer_load_dword v46, v230, s[20:23], 0 idxen             // 0000000052A0: E0502000 80052EE6
	buffer_load_dword v47, v231, s[20:23], 0 idxen             // 0000000052A8: E0502000 80052FE7
	s_waitcnt lgkmcnt(0)                                       // 0000000052B0: BF8CC07F
	s_barrier                                                  // 0000000052B4: BF8A0000
	ds_read_b128 a[72:75], v24                                 // 0000000052B8: DBFE0000 48000018
	ds_read_b128 a[76:79], v24 offset:512                      // 0000000052C0: DBFE0200 4C000018
	v_add_u32_e32 v1, s68, v1                                  // 0000000052C8: 68020244
	v_add_u32_e32 v2, s68, v2                                  // 0000000052CC: 68040444
	v_add_u32_e32 v3, s68, v3                                  // 0000000052D0: 68060644
	v_add_u32_e32 v4, s68, v4                                  // 0000000052D4: 68080844
	v_add_u32_e32 v228, s99, v228                              // 0000000052D8: 69C9C863
	v_add_u32_e32 v229, s99, v229                              // 0000000052DC: 69CBCA63
	v_add_u32_e32 v230, s99, v230                              // 0000000052E0: 69CDCC63
	v_add_u32_e32 v231, s99, v231                              // 0000000052E4: 69CFCE63
	s_waitcnt vmcnt(16) lgkmcnt(0)                             // 0000000052E8: BF8C4070
	s_barrier                                                  // 0000000052EC: BF8A0000
	s_cmp_lt_i32 1, s72                                        // 0000000052F0: BF044881
	s_cbranch_scc1 label_04C6                                  // 0000000052F4: BF850008
	v_mov_b32_e32 v188, 0                                      // 0000000052F8: 7F780280
	v_mov_b32_e32 v189, 0                                      // 0000000052FC: 7F7A0280
	v_mov_b32_e32 v190, 0                                      // 000000005300: 7F7C0280
	v_mov_b32_e32 v191, 0                                      // 000000005304: 7F7E0280
	v_mov_b32_e32 v192, 0                                      // 000000005308: 7F800280
	v_mov_b32_e32 v193, 0                                      // 00000000530C: 7F820280
	v_mov_b32_e32 v194, 0                                      // 000000005310: 7F840280
	v_mov_b32_e32 v195, 0                                      // 000000005314: 7F860280

0000000000005318 <label_04C6>:
	ds_write_b32 v13, v188                                     // 000000005318: D81A0000 0000BC0D
	ds_write_b32 v13, v189 offset:1056                         // 000000005320: D81A0420 0000BD0D
	ds_write_b32 v13, v190 offset:2176                         // 000000005328: D81A0880 0000BE0D
	ds_write_b32 v13, v191 offset:3232                         // 000000005330: D81A0CA0 0000BF0D
	ds_write_b32 v13, v192 offset:4352                         // 000000005338: D81A1100 0000C00D
	ds_write_b32 v13, v193 offset:5408                         // 000000005340: D81A1520 0000C10D
	ds_write_b32 v13, v194 offset:6528                         // 000000005348: D81A1980 0000C20D
	ds_write_b32 v13, v195 offset:7584                         // 000000005350: D81A1DA0 0000C30D
	buffer_load_dword v40, v1, s[8:11], 0 idxen                // 000000005358: E0502000 80022801
	buffer_load_dword v41, v2, s[8:11], 0 idxen                // 000000005360: E0502000 80022902
	buffer_load_dword v42, v3, s[8:11], 0 idxen                // 000000005368: E0502000 80022A03
	buffer_load_dword v43, v4, s[8:11], 0 idxen                // 000000005370: E0502000 80022B04
	buffer_load_dword v48, v228, s[20:23], 0 idxen             // 000000005378: E0502000 800530E4
	buffer_load_dword v49, v229, s[20:23], 0 idxen             // 000000005380: E0502000 800531E5
	buffer_load_dword v50, v230, s[20:23], 0 idxen             // 000000005388: E0502000 800532E6
	buffer_load_dword v51, v231, s[20:23], 0 idxen             // 000000005390: E0502000 800533E7
	s_waitcnt lgkmcnt(0)                                       // 000000005398: BF8CC07F
	s_barrier                                                  // 00000000539C: BF8A0000
	ds_read_b128 a[80:83], v24                                 // 0000000053A0: DBFE0000 50000018
	ds_read_b128 a[84:87], v24 offset:512                      // 0000000053A8: DBFE0200 54000018
	s_add_u32 s60, 64, s59                                     // 0000000053B0: 803C3BC0
	s_cmp_lt_u32 s60, s58                                      // 0000000053B4: BF0A3A3C
	s_cselect_b32 s68, s68, 0                                  // 0000000053B8: 85448044
	s_cselect_b32 s99, s99, 0                                  // 0000000053BC: 85638063
	v_add_u32_e32 v1, s68, v1                                  // 0000000053C0: 68020244
	v_add_u32_e32 v2, s68, v2                                  // 0000000053C4: 68040444
	v_add_u32_e32 v3, s68, v3                                  // 0000000053C8: 68060644
	v_add_u32_e32 v4, s68, v4                                  // 0000000053CC: 68080844
	v_add_u32_e32 v228, s99, v228                              // 0000000053D0: 69C9C863
	v_add_u32_e32 v229, s99, v229                              // 0000000053D4: 69CBCA63
	v_add_u32_e32 v230, s99, v230                              // 0000000053D8: 69CDCC63
	v_add_u32_e32 v231, s99, v231                              // 0000000053DC: 69CFCE63
	s_waitcnt vmcnt(16) lgkmcnt(0)                             // 0000000053E0: BF8C4070
	s_barrier                                                  // 0000000053E4: BF8A0000
	s_cmp_lt_i32 2, s72                                        // 0000000053E8: BF044882
	s_cbranch_scc1 label_0504                                  // 0000000053EC: BF850008
	v_mov_b32_e32 v196, 0                                      // 0000000053F0: 7F880280
	v_mov_b32_e32 v197, 0                                      // 0000000053F4: 7F8A0280
	v_mov_b32_e32 v198, 0                                      // 0000000053F8: 7F8C0280
	v_mov_b32_e32 v199, 0                                      // 0000000053FC: 7F8E0280
	v_mov_b32_e32 v200, 0                                      // 000000005400: 7F900280
	v_mov_b32_e32 v201, 0                                      // 000000005404: 7F920280
	v_mov_b32_e32 v202, 0                                      // 000000005408: 7F940280
	v_mov_b32_e32 v203, 0                                      // 00000000540C: 7F960280

0000000000005410 <label_0504>:
	ds_write_b32 v13, v196                                     // 000000005410: D81A0000 0000C40D
	ds_write_b32 v13, v197 offset:1056                         // 000000005418: D81A0420 0000C50D
	ds_write_b32 v13, v198 offset:2176                         // 000000005420: D81A0880 0000C60D
	ds_write_b32 v13, v199 offset:3232                         // 000000005428: D81A0CA0 0000C70D
	ds_write_b32 v13, v200 offset:4352                         // 000000005430: D81A1100 0000C80D
	ds_write_b32 v13, v201 offset:5408                         // 000000005438: D81A1520 0000C90D
	ds_write_b32 v13, v202 offset:6528                         // 000000005440: D81A1980 0000CA0D
	ds_write_b32 v13, v203 offset:7584                         // 000000005448: D81A1DA0 0000CB0D
	s_waitcnt lgkmcnt(0)                                       // 000000005450: BF8CC07F
	s_barrier                                                  // 000000005454: BF8A0000
	ds_read_b128 a[88:91], v24                                 // 000000005458: DBFE0000 58000018
	ds_read_b128 a[92:95], v24 offset:512                      // 000000005460: DBFE0200 5C000018
	s_waitcnt vmcnt(8) lgkmcnt(0)                              // 000000005468: BF8C0078
	s_barrier                                                  // 00000000546C: BF8A0000
	buffer_load_dword v11, s[24:27], 0 idxen lds               // 000000005470: E0512000 8006000B
	s_mov_b32 m0, s79                                          // 000000005478: BEFC004F
	v_add_u32_e32 v11, s69, v11                                // 00000000547C: 68161645
	v_perm_b32 v100, v37, v36, s63                             // 000000005480: D1ED0064 00FE4925
	v_perm_b32 v101, v37, v36, s64                             // 000000005488: D1ED0065 01024925
	v_perm_b32 v102, v39, v38, s63                             // 000000005490: D1ED0066 00FE4D27
	v_perm_b32 v103, v39, v38, s64                             // 000000005498: D1ED0067 01024D27
	ds_write_b32 v15, v100 offset:4352                         // 0000000054A0: D81A1100 0000640F
	ds_write_b32 v15, v101 offset:5408                         // 0000000054A8: D81A1520 0000650F
	ds_write_b32 v15, v102 offset:6528                         // 0000000054B0: D81A1980 0000660F
	ds_write_b32 v15, v103 offset:7584                         // 0000000054B8: D81A1DA0 0000670F
	ds_write_b32 v13, v36                                      // 0000000054C0: D81A0000 0000240D
	ds_write_b32 v13, v37 offset:1056                          // 0000000054C8: D81A0420 0000250D
	ds_write_b32 v13, v38 offset:2176                          // 0000000054D0: D81A0880 0000260D
	ds_write_b32 v13, v39 offset:3232                          // 0000000054D8: D81A0CA0 0000270D
	buffer_load_dword v11, s[24:27], 0 idxen lds               // 0000000054E0: E0512000 8006000B
	s_add_u32 s60, 64, s59                                     // 0000000054E8: 803C3BC0
	s_cmp_lt_u32 s60, s58                                      // 0000000054EC: BF0A3A3C
	s_cselect_b32 s69, s69, 0                                  // 0000000054F0: 85458045
	s_mov_b32 m0, s78                                          // 0000000054F4: BEFC004E
	v_add_u32_e32 v11, s69, v11                                // 0000000054F8: 68161645
	v_perm_b32 v104, v45, v44, s63                             // 0000000054FC: D1ED0068 00FE592D
	v_perm_b32 v105, v45, v44, s64                             // 000000005504: D1ED0069 0102592D
	v_perm_b32 v106, v47, v46, s63                             // 00000000550C: D1ED006A 00FE5D2F
	v_perm_b32 v107, v47, v46, s64                             // 000000005514: D1ED006B 01025D2F
	ds_write_b32 v15, v104 offset:13056                        // 00000000551C: D81A3300 0000680F
	ds_write_b32 v15, v105 offset:14112                        // 000000005524: D81A3720 0000690F
	ds_write_b32 v15, v106 offset:15232                        // 00000000552C: D81A3B80 00006A0F
	ds_write_b32 v15, v107 offset:16288                        // 000000005534: D81A3FA0 00006B0F
	ds_write_b32 v13, v44 offset:8704                          // 00000000553C: D81A2200 00002C0D
	ds_write_b32 v13, v45 offset:9760                          // 000000005544: D81A2620 00002D0D
	ds_write_b32 v13, v46 offset:10880                         // 00000000554C: D81A2A80 00002E0D
	ds_write_b32 v13, v47 offset:11936                         // 000000005554: D81A2EA0 00002F0D
	s_waitcnt vmcnt(1) lgkmcnt(0)                              // 00000000555C: BF8C0071
	s_barrier                                                  // 000000005560: BF8A0000
	ds_read_b128 a[96:99], v12                                 // 000000005564: DBFE0000 6000000C
	ds_read_b128 a[100:103], v12 offset:512                    // 00000000556C: DBFE0200 6400000C
	ds_read_b128 a[104:107], v12 offset:2176                   // 000000005574: DBFE0880 6800000C
	ds_read_b128 a[108:111], v12 offset:2688                   // 00000000557C: DBFE0A80 6C00000C
	ds_read_b128 v[108:111], v12 offset:8704                   // 000000005584: D9FE2200 6C00000C
	ds_read_b128 v[112:115], v12 offset:9216                   // 00000000558C: D9FE2400 7000000C
	ds_read_b128 v[116:119], v12 offset:10880                  // 000000005594: D9FE2A80 7400000C
	ds_read_b128 v[120:123], v12 offset:11392                  // 00000000559C: D9FE2C80 7800000C
	ds_read_b32 v140, v23 offset:39424                         // 0000000055A4: D86C9A00 8C000017
	ds_read_b32 v144, v23 offset:39488                         // 0000000055AC: D86C9A40 90000017
	ds_read_b32 v176, v23 offset:39680                         // 0000000055B4: D86C9B00 B0000017
	ds_read_b32 v177, v23 offset:39744                         // 0000000055BC: D86C9B40 B1000017
	v_accvgpr_write_b32 a112, 0                                // 0000000055C4: D3D94070 18000080
	v_mov_b32_e32 v180, 0                                      // 0000000055CC: 7F680280
	v_accvgpr_write_b32 a113, 0                                // 0000000055D0: D3D94071 18000080
	v_mov_b32_e32 v181, 0                                      // 0000000055D8: 7F6A0280
	v_accvgpr_write_b32 a114, 0                                // 0000000055DC: D3D94072 18000080
	v_mov_b32_e32 v182, 0                                      // 0000000055E4: 7F6C0280
	v_accvgpr_write_b32 a115, 0                                // 0000000055E8: D3D94073 18000080
	v_mov_b32_e32 v183, 0                                      // 0000000055F0: 7F6E0280
	v_accvgpr_write_b32 a116, 0                                // 0000000055F4: D3D94074 18000080
	v_mov_b32_e32 v184, 0                                      // 0000000055FC: 7F700280
	v_accvgpr_write_b32 a117, 0                                // 000000005600: D3D94075 18000080
	v_mov_b32_e32 v185, 0                                      // 000000005608: 7F720280
	v_accvgpr_write_b32 a118, 0                                // 00000000560C: D3D94076 18000080
	v_mov_b32_e32 v186, 0                                      // 000000005614: 7F740280
	v_accvgpr_write_b32 a119, 0                                // 000000005618: D3D94077 18000080
	v_mov_b32_e32 v187, 0                                      // 000000005620: 7F760280
	v_accvgpr_write_b32 a120, 0                                // 000000005624: D3D94078 18000080
	v_mov_b32_e32 v188, 0                                      // 00000000562C: 7F780280
	v_accvgpr_write_b32 a121, 0                                // 000000005630: D3D94079 18000080
	v_mov_b32_e32 v189, 0                                      // 000000005638: 7F7A0280
	v_accvgpr_write_b32 a122, 0                                // 00000000563C: D3D9407A 18000080
	v_mov_b32_e32 v190, 0                                      // 000000005644: 7F7C0280
	v_accvgpr_write_b32 a123, 0                                // 000000005648: D3D9407B 18000080
	v_mov_b32_e32 v191, 0                                      // 000000005650: 7F7E0280
	v_accvgpr_write_b32 a124, 0                                // 000000005654: D3D9407C 18000080
	v_mov_b32_e32 v192, 0                                      // 00000000565C: 7F800280
	v_accvgpr_write_b32 a125, 0                                // 000000005660: D3D9407D 18000080
	v_mov_b32_e32 v193, 0                                      // 000000005668: 7F820280
	v_accvgpr_write_b32 a126, 0                                // 00000000566C: D3D9407E 18000080
	v_mov_b32_e32 v194, 0                                      // 000000005674: 7F840280
	v_accvgpr_write_b32 a127, 0                                // 000000005678: D3D9407F 18000080
	v_mov_b32_e32 v195, 0                                      // 000000005680: 7F860280
	v_accvgpr_write_b32 a128, 0                                // 000000005684: D3D94080 18000080
	v_mov_b32_e32 v196, 0                                      // 00000000568C: 7F880280
	v_accvgpr_write_b32 a129, 0                                // 000000005690: D3D94081 18000080
	v_mov_b32_e32 v197, 0                                      // 000000005698: 7F8A0280
	v_accvgpr_write_b32 a130, 0                                // 00000000569C: D3D94082 18000080
	v_mov_b32_e32 v198, 0                                      // 0000000056A4: 7F8C0280
	v_accvgpr_write_b32 a131, 0                                // 0000000056A8: D3D94083 18000080
	v_mov_b32_e32 v199, 0                                      // 0000000056B0: 7F8E0280
	v_accvgpr_write_b32 a132, 0                                // 0000000056B4: D3D94084 18000080
	v_mov_b32_e32 v200, 0                                      // 0000000056BC: 7F900280
	v_accvgpr_write_b32 a133, 0                                // 0000000056C0: D3D94085 18000080
	v_mov_b32_e32 v201, 0                                      // 0000000056C8: 7F920280
	v_accvgpr_write_b32 a134, 0                                // 0000000056CC: D3D94086 18000080
	v_mov_b32_e32 v202, 0                                      // 0000000056D4: 7F940280
	v_accvgpr_write_b32 a135, 0                                // 0000000056D8: D3D94087 18000080
	v_mov_b32_e32 v203, 0                                      // 0000000056E0: 7F960280
	v_accvgpr_write_b32 a136, 0                                // 0000000056E4: D3D94088 18000080
	v_mov_b32_e32 v204, 0                                      // 0000000056EC: 7F980280
	v_accvgpr_write_b32 a137, 0                                // 0000000056F0: D3D94089 18000080
	v_mov_b32_e32 v205, 0                                      // 0000000056F8: 7F9A0280
	v_accvgpr_write_b32 a138, 0                                // 0000000056FC: D3D9408A 18000080
	v_mov_b32_e32 v206, 0                                      // 000000005704: 7F9C0280
	v_accvgpr_write_b32 a139, 0                                // 000000005708: D3D9408B 18000080
	v_mov_b32_e32 v207, 0                                      // 000000005710: 7F9E0280
	v_accvgpr_write_b32 a140, 0                                // 000000005714: D3D9408C 18000080
	v_mov_b32_e32 v208, 0                                      // 00000000571C: 7FA00280
	v_accvgpr_write_b32 a141, 0                                // 000000005720: D3D9408D 18000080
	v_mov_b32_e32 v209, 0                                      // 000000005728: 7FA20280
	v_accvgpr_write_b32 a142, 0                                // 00000000572C: D3D9408E 18000080
	v_mov_b32_e32 v210, 0                                      // 000000005734: 7FA40280
	v_accvgpr_write_b32 a143, 0                                // 000000005738: D3D9408F 18000080
	v_mov_b32_e32 v211, 0                                      // 000000005740: 7FA60280
	v_accvgpr_write_b32 a144, 0                                // 000000005744: D3D94090 18000080
	v_mov_b32_e32 v212, 0                                      // 00000000574C: 7FA80280
	v_accvgpr_write_b32 a145, 0                                // 000000005750: D3D94091 18000080
	v_mov_b32_e32 v213, 0                                      // 000000005758: 7FAA0280
	v_accvgpr_write_b32 a146, 0                                // 00000000575C: D3D94092 18000080
	v_mov_b32_e32 v214, 0                                      // 000000005764: 7FAC0280
	v_accvgpr_write_b32 a147, 0                                // 000000005768: D3D94093 18000080
	v_mov_b32_e32 v215, 0                                      // 000000005770: 7FAE0280
	v_accvgpr_write_b32 a148, 0                                // 000000005774: D3D94094 18000080
	v_mov_b32_e32 v216, 0                                      // 00000000577C: 7FB00280
	v_accvgpr_write_b32 a149, 0                                // 000000005780: D3D94095 18000080
	v_mov_b32_e32 v217, 0                                      // 000000005788: 7FB20280
	v_accvgpr_write_b32 a150, 0                                // 00000000578C: D3D94096 18000080
	v_mov_b32_e32 v218, 0                                      // 000000005794: 7FB40280
	v_accvgpr_write_b32 a151, 0                                // 000000005798: D3D94097 18000080
	v_mov_b32_e32 v219, 0                                      // 0000000057A0: 7FB60280
	v_accvgpr_write_b32 a152, 0                                // 0000000057A4: D3D94098 18000080
	v_mov_b32_e32 v220, 0                                      // 0000000057AC: 7FB80280
	v_accvgpr_write_b32 a153, 0                                // 0000000057B0: D3D94099 18000080
	v_mov_b32_e32 v221, 0                                      // 0000000057B8: 7FBA0280
	v_accvgpr_write_b32 a154, 0                                // 0000000057BC: D3D9409A 18000080
	v_mov_b32_e32 v222, 0                                      // 0000000057C4: 7FBC0280
	v_accvgpr_write_b32 a155, 0                                // 0000000057C8: D3D9409B 18000080
	v_mov_b32_e32 v223, 0                                      // 0000000057D0: 7FBE0280
	v_accvgpr_write_b32 a156, 0                                // 0000000057D4: D3D9409C 18000080
	v_mov_b32_e32 v224, 0                                      // 0000000057DC: 7FC00280
	v_accvgpr_write_b32 a157, 0                                // 0000000057E0: D3D9409D 18000080
	v_mov_b32_e32 v225, 0                                      // 0000000057E8: 7FC20280
	v_accvgpr_write_b32 a158, 0                                // 0000000057EC: D3D9409E 18000080
	v_mov_b32_e32 v226, 0                                      // 0000000057F4: 7FC40280
	v_accvgpr_write_b32 a159, 0                                // 0000000057F8: D3D9409F 18000080
	v_mov_b32_e32 v227, 0                                      // 000000005800: 7FC60280
	v_mov_b32_e32 v156, 0                                      // 000000005804: 7F380280
	v_mov_b32_e32 v157, 0                                      // 000000005808: 7F3A0280
	v_mov_b32_e32 v158, 0                                      // 00000000580C: 7F3C0280
	v_mov_b32_e32 v159, 0                                      // 000000005810: 7F3E0280
	v_mov_b32_e32 v160, 0                                      // 000000005814: 7F400280
	v_mov_b32_e32 v161, 0                                      // 000000005818: 7F420280
	v_mov_b32_e32 v162, 0                                      // 00000000581C: 7F440280
	v_mov_b32_e32 v163, 0                                      // 000000005820: 7F460280
	v_mov_b32_e32 v148, 0                                      // 000000005824: 7F280280
	v_mov_b32_e32 v149, 0                                      // 000000005828: 7F2A0280
	v_mov_b32_e32 v150, 0                                      // 00000000582C: 7F2C0280
	v_mov_b32_e32 v151, 0                                      // 000000005830: 7F2E0280
	v_mov_b32_e32 v152, 0                                      // 000000005834: 7F300280
	v_mov_b32_e32 v153, 0                                      // 000000005838: 7F320280
	v_mov_b32_e32 v154, 0                                      // 00000000583C: 7F340280
	v_mov_b32_e32 v155, 0                                      // 000000005840: 7F360280
	s_waitcnt lgkmcnt(0)                                       // 000000005844: BF8CC07F
	s_barrier                                                  // 000000005848: BF8A0000
	buffer_load_dword v36, v1, s[8:11], 0 idxen                // 00000000584C: E0502000 80022401
	buffer_load_dword v37, v2, s[8:11], 0 idxen                // 000000005854: E0502000 80022502
	buffer_load_dword v38, v3, s[8:11], 0 idxen                // 00000000585C: E0502000 80022603
	buffer_load_dword v39, v4, s[8:11], 0 idxen                // 000000005864: E0502000 80022704
	buffer_load_dword v44, v228, s[20:23], 0 idxen             // 00000000586C: E0502000 80052CE4
	buffer_load_dword v45, v229, s[20:23], 0 idxen             // 000000005874: E0502000 80052DE5
	buffer_load_dword v46, v230, s[20:23], 0 idxen             // 00000000587C: E0502000 80052EE6
	buffer_load_dword v47, v231, s[20:23], 0 idxen             // 000000005884: E0502000 80052FE7
	buffer_load_dword v11, s[24:27], 0 idxen lds               // 00000000588C: E0512000 8006000B
	s_add_u32 s60, 0x60, s59                                   // 000000005894: 803C3BFF 00000060
	s_cmp_lt_u32 s60, s58                                      // 00000000589C: BF0A3A3C
	s_cselect_b32 s68, s68, 0                                  // 0000000058A0: 85448044
	s_cselect_b32 s99, s99, 0                                  // 0000000058A4: 85638063
	s_cselect_b32 s69, s69, 0                                  // 0000000058A8: 85458045
	s_mov_b32 m0, s79                                          // 0000000058AC: BEFC004F
	v_add_u32_e32 v11, s69, v11                                // 0000000058B0: 68161645
	v_add_u32_e32 v1, s68, v1                                  // 0000000058B4: 68020244
	v_add_u32_e32 v2, s68, v2                                  // 0000000058B8: 68040444
	v_add_u32_e32 v3, s68, v3                                  // 0000000058BC: 68060644
	v_add_u32_e32 v4, s68, v4                                  // 0000000058C0: 68080844
	v_add_u32_e32 v228, s99, v228                              // 0000000058C4: 69C9C863
	v_add_u32_e32 v229, s99, v229                              // 0000000058C8: 69CBCA63
	v_add_u32_e32 v230, s99, v230                              // 0000000058CC: 69CDCC63
	v_add_u32_e32 v231, s99, v231                              // 0000000058D0: 69CFCE63
	v_mul_f32_e32 v140, s48, v140                              // 0000000058D4: 0B191830
	v_mul_f32_e32 v144, s48, v144                              // 0000000058D8: 0B212030
	v_perm_b32 v100, v41, v40, s63                             // 0000000058DC: D1ED0064 00FE5129
	v_perm_b32 v101, v41, v40, s64                             // 0000000058E4: D1ED0065 01025129
	v_perm_b32 v102, v43, v42, s63                             // 0000000058EC: D1ED0066 00FE552B
	v_perm_b32 v103, v43, v42, s64                             // 0000000058F4: D1ED0067 0102552B
	v_perm_b32 v104, v49, v48, s63                             // 0000000058FC: D1ED0068 00FE6131
	v_perm_b32 v105, v49, v48, s64                             // 000000005904: D1ED0069 01026131
	v_perm_b32 v106, v51, v50, s63                             // 00000000590C: D1ED006A 00FE6533
	v_perm_b32 v107, v51, v50, s64                             // 000000005914: D1ED006B 01026533
	v_mov_b32_dpp v143, v140 quad_perm:[3,3,3,3] row_mask:0xf bank_mask:0xf// 00000000591C: 7F1E02FA FF00FF8C
	v_mov_b32_dpp v142, v140 quad_perm:[2,2,2,2] row_mask:0xf bank_mask:0xf// 000000005924: 7F1C02FA FF00AA8C
	v_mov_b32_dpp v141, v140 quad_perm:[1,1,1,1] row_mask:0xf bank_mask:0xf// 00000000592C: 7F1A02FA FF00558C
	v_mov_b32_dpp v140, v140 quad_perm:[0,0,0,0] row_mask:0xf bank_mask:0xf// 000000005934: 7F1802FA FF00008C
	v_mov_b32_dpp v147, v144 quad_perm:[3,3,3,3] row_mask:0xf bank_mask:0xf// 00000000593C: 7F2602FA FF00FF90
	v_mov_b32_dpp v146, v144 quad_perm:[2,2,2,2] row_mask:0xf bank_mask:0xf// 000000005944: 7F2402FA FF00AA90
	v_mov_b32_dpp v145, v144 quad_perm:[1,1,1,1] row_mask:0xf bank_mask:0xf// 00000000594C: 7F2202FA FF005590
	v_mov_b32_dpp v144, v144 quad_perm:[0,0,0,0] row_mask:0xf bank_mask:0xf// 000000005954: 7F2002FA FF000090
	s_waitcnt vmcnt(9)                                         // 00000000595C: BF8C0F79
	s_barrier                                                  // 000000005960: BF8A0000
	s_cmp_lt_i32 s46, 2                                        // 000000005964: BF04822E
	s_cbranch_scc0 label_0DFB                                  // 000000005968: BF84078E
	s_nop 0                                                    // 00000000596C: BF800000
	s_nop 0                                                    // 000000005970: BF800000

0000000000005974 <label_065D>:
	s_waitcnt lgkmcnt(0)                                       // 000000005974: BF8CC07F
	s_barrier                                                  // 000000005978: BF8A0000
	v_mfma_f32_16x16x16_f16 v[52:55], a[96:97], a[0:1], 0      // 00000000597C: D3CD0034 1A020160
	ds_write_b32 v13, v48 offset:8704                          // 000000005984: D81A2200 0000300D
	ds_write_b32 v13, v49 offset:9760                          // 00000000598C: D81A2620 0000310D
	v_mfma_f32_16x16x16_f16 v[52:55], a[98:99], a[2:3], v[52:55]// 000000005994: D3CD0034 1CD20562
	v_mul_f32_e32 v148, s47, v148                              // 00000000599C: 0B29282F
	v_mul_f32_e32 v149, s47, v149                              // 0000000059A0: 0B2B2A2F
	v_mfma_f32_16x16x16_f16 v[52:55], a[100:101], a[4:5], v[52:55]// 0000000059A4: D3CD0034 1CD20964
	ds_write_b32 v13, v50 offset:10880                         // 0000000059AC: D81A2A80 0000320D
	ds_write_b32 v13, v51 offset:11936                         // 0000000059B4: D81A2EA0 0000330D
	v_mfma_f32_16x16x16_f16 v[52:55], a[102:103], a[6:7], v[52:55]// 0000000059BC: D3CD0034 1CD20D66
	v_mul_f32_e32 v150, s47, v150                              // 0000000059C4: 0B2D2C2F
	v_mul_f32_e32 v151, s47, v151                              // 0000000059C8: 0B2F2E2F
	v_mfma_f32_16x16x16_f16 v[56:59], a[96:97], a[8:9], 0      // 0000000059CC: D3CD0038 1A021160
	ds_write_b64 v22, v[148:149] offset:31232                  // 0000000059D4: D89A7A00 00009416
	v_mfma_f32_16x16x16_f16 v[56:59], a[98:99], a[10:11], v[56:59]// 0000000059DC: D3CD0038 1CE21562
	v_mul_f32_e32 v152, s47, v152                              // 0000000059E4: 0B31302F
	v_mul_f32_e32 v153, s47, v153                              // 0000000059E8: 0B33322F
	v_mfma_f32_16x16x16_f16 v[56:59], a[100:101], a[12:13], v[56:59]// 0000000059EC: D3CD0038 1CE21964
	ds_write_b64 v22, v[150:151] offset:31744                  // 0000000059F4: D89A7C00 00009616
	v_mfma_f32_16x16x16_f16 v[56:59], a[102:103], a[14:15], v[56:59]// 0000000059FC: D3CD0038 1CE21D66
	v_mul_f32_e32 v154, s47, v154                              // 000000005A04: 0B35342F
	v_mul_f32_e32 v155, s47, v155                              // 000000005A08: 0B37362F
	v_mfma_f32_16x16x16_f16 v[60:63], a[96:97], a[16:17], 0    // 000000005A0C: D3CD003C 1A022160
	ds_write_b64 v22, v[152:153] offset:32256                  // 000000005A14: D89A7E00 00009816
	v_mfma_f32_16x16x16_f16 v[60:63], a[98:99], a[18:19], v[60:63]// 000000005A1C: D3CD003C 1CF22562
	buffer_atomic_add_f32 v160, v8, s[32:35], 0 idxen          // 000000005A24: E1342000 8008A008
	v_mfma_f32_16x16x16_f16 v[60:63], a[100:101], a[20:21], v[60:63]// 000000005A2C: D3CD003C 1CF22964
	ds_write_b64 v22, v[154:155] offset:32768                  // 000000005A34: D89A8000 00009A16
	v_mfma_f32_16x16x16_f16 v[60:63], a[102:103], a[22:23], v[60:63]// 000000005A3C: D3CD003C 1CF22D66
	v_mfma_f32_16x16x16_f16 v[64:67], a[104:105], a[0:1], 0    // 000000005A44: D3CD0040 1A020168
	ds_read_b128 v[124:127], v14 offset:13056                  // 000000005A4C: D9FE3300 7C00000E
	ds_write_b32 v13, v40                                      // 000000005A54: D81A0000 0000280D
	v_mfma_f32_16x16x16_f16 v[64:67], a[106:107], a[2:3], v[64:67]// 000000005A5C: D3CD0040 1D02056A
	buffer_atomic_add_f32 v161, v9, s[32:35], 0 idxen          // 000000005A64: E1342000 8008A109
	v_mfma_f32_16x16x16_f16 v[64:67], a[108:109], a[4:5], v[64:67]// 000000005A6C: D3CD0040 1D02096C
	v_mfma_f32_16x16x16_f16 v[64:67], a[110:111], a[6:7], v[64:67]// 000000005A74: D3CD0040 1D020D6E
	ds_read_b128 v[128:131], v14 offset:13568                  // 000000005A7C: D9FE3500 8000000E
	ds_write_b32 v13, v41 offset:1056                          // 000000005A84: D81A0420 0000290D
	v_mfma_f32_16x16x16_f16 v[68:71], a[104:105], a[8:9], 0    // 000000005A8C: D3CD0044 1A021168
	buffer_atomic_add_f32 v162, v8, s[32:35], 0 idxen offset:128// 000000005A94: E1342080 8008A208
	v_mfma_f32_16x16x16_f16 v[68:71], a[106:107], a[10:11], v[68:71]// 000000005A9C: D3CD0044 1D12156A
	v_mfma_f32_16x16x16_f16 v[68:71], a[108:109], a[12:13], v[68:71]// 000000005AA4: D3CD0044 1D12196C
	ds_read_b128 v[132:135], v14 offset:15232                  // 000000005AAC: D9FE3B80 8400000E
	ds_write_b32 v13, v42 offset:2176                          // 000000005AB4: D81A0880 00002A0D
	v_mfma_f32_16x16x16_f16 v[68:71], a[110:111], a[14:15], v[68:71]// 000000005ABC: D3CD0044 1D121D6E
	v_mfma_f32_16x16x16_f16 v[72:75], a[104:105], a[16:17], 0  // 000000005AC4: D3CD0048 1A022168
	buffer_atomic_add_f32 v163, v9, s[32:35], 0 idxen offset:128// 000000005ACC: E1342080 8008A309
	v_mfma_f32_16x16x16_f16 v[72:75], a[106:107], a[18:19], v[72:75]// 000000005AD4: D3CD0048 1D22256A
	ds_read_b128 v[136:139], v14 offset:15744                  // 000000005ADC: D9FE3D80 8800000E
	ds_write_b32 v13, v43 offset:3232                          // 000000005AE4: D81A0CA0 00002B0D
	v_mfma_f32_16x16x16_f16 v[72:75], a[108:109], a[20:21], v[72:75]// 000000005AEC: D3CD0048 1D22296C
	v_mfma_f32_16x16x16_f16 v[72:75], a[110:111], a[22:23], v[72:75]// 000000005AF4: D3CD0048 1D222D6E
	s_cmp_eq_i32 s92, 0                                        // 000000005AFC: BF00805C
	s_cbranch_scc1 label_07BA                                  // 000000005B00: BF8500F0
	s_cmp_lt_i32 s74, 6                                        // 000000005B04: BF04864A
	s_cbranch_scc0 label_0741                                  // 000000005B08: BF84007E
	s_lshl_b32 s60, s74, 5                                     // 000000005B0C: 8E3C854A
	s_lshl_b32 s61, 0, 4                                       // 000000005B10: 8E3D8480
	s_add_i32 s60, s60, s61                                    // 000000005B14: 813C3D3C
	v_sub_i32 v32, v232, s60                                   // 000000005B18: D29D0020 000079E8
	s_mov_b32 s61, 0                                           // 000000005B20: BEBD0080
	v_add_i32 v33, v32, s61                                    // 000000005B24: D29C0021 00007B20
	v_cmp_gt_i32_e64 s[88:89], v33, 0                          // 000000005B2C: D0C40058 00010121
	v_cmp_gt_i32_e64 s[90:91], v33, 1                          // 000000005B34: D0C4005A 00010321
	v_cndmask_b32_e64 v52, v52, v178, s[88:89]                 // 000000005B3C: D1000034 01636534
	v_cndmask_b32_e64 v53, v53, v178, s[90:91]                 // 000000005B44: D1000035 016B6535
	v_cmp_gt_i32_e64 s[88:89], v33, 2                          // 000000005B4C: D0C40058 00010521
	v_cmp_gt_i32_e64 s[90:91], v33, 3                          // 000000005B54: D0C4005A 00010721
	v_cndmask_b32_e64 v54, v54, v178, s[88:89]                 // 000000005B5C: D1000036 01636536
	v_cndmask_b32_e64 v55, v55, v178, s[90:91]                 // 000000005B64: D1000037 016B6537
	s_mov_b32 s61, 64                                          // 000000005B6C: BEBD00C0
	v_add_i32 v33, v32, s61                                    // 000000005B70: D29C0021 00007B20
	v_cmp_gt_i32_e64 s[88:89], v33, 0                          // 000000005B78: D0C40058 00010121
	v_cmp_gt_i32_e64 s[90:91], v33, 1                          // 000000005B80: D0C4005A 00010321
	v_cndmask_b32_e64 v56, v56, v178, s[88:89]                 // 000000005B88: D1000038 01636538
	v_cndmask_b32_e64 v57, v57, v178, s[90:91]                 // 000000005B90: D1000039 016B6539
	v_cmp_gt_i32_e64 s[88:89], v33, 2                          // 000000005B98: D0C40058 00010521
	v_cmp_gt_i32_e64 s[90:91], v33, 3                          // 000000005BA0: D0C4005A 00010721
	v_cndmask_b32_e64 v58, v58, v178, s[88:89]                 // 000000005BA8: D100003A 0163653A
	v_cndmask_b32_e64 v59, v59, v178, s[90:91]                 // 000000005BB0: D100003B 016B653B
	s_mov_b32 s61, 0x80                                        // 000000005BB8: BEBD00FF 00000080
	v_add_i32 v33, v32, s61                                    // 000000005BC0: D29C0021 00007B20
	v_cmp_gt_i32_e64 s[88:89], v33, 0                          // 000000005BC8: D0C40058 00010121
	v_cmp_gt_i32_e64 s[90:91], v33, 1                          // 000000005BD0: D0C4005A 00010321
	v_cndmask_b32_e64 v60, v60, v178, s[88:89]                 // 000000005BD8: D100003C 0163653C
	v_cndmask_b32_e64 v61, v61, v178, s[90:91]                 // 000000005BE0: D100003D 016B653D
	v_cmp_gt_i32_e64 s[88:89], v33, 2                          // 000000005BE8: D0C40058 00010521
	v_cmp_gt_i32_e64 s[90:91], v33, 3                          // 000000005BF0: D0C4005A 00010721
	v_cndmask_b32_e64 v62, v62, v178, s[88:89]                 // 000000005BF8: D100003E 0163653E
	v_cndmask_b32_e64 v63, v63, v178, s[90:91]                 // 000000005C00: D100003F 016B653F
	s_lshl_b32 s60, s74, 5                                     // 000000005C08: 8E3C854A
	s_lshl_b32 s61, 1, 4                                       // 000000005C0C: 8E3D8481
	s_add_i32 s60, s60, s61                                    // 000000005C10: 813C3D3C
	v_sub_i32 v32, v232, s60                                   // 000000005C14: D29D0020 000079E8
	s_mov_b32 s61, 0                                           // 000000005C1C: BEBD0080
	v_add_i32 v33, v32, s61                                    // 000000005C20: D29C0021 00007B20
	v_cmp_gt_i32_e64 s[88:89], v33, 0                          // 000000005C28: D0C40058 00010121
	v_cmp_gt_i32_e64 s[90:91], v33, 1                          // 000000005C30: D0C4005A 00010321
	v_cndmask_b32_e64 v64, v64, v178, s[88:89]                 // 000000005C38: D1000040 01636540
	v_cndmask_b32_e64 v65, v65, v178, s[90:91]                 // 000000005C40: D1000041 016B6541
	v_cmp_gt_i32_e64 s[88:89], v33, 2                          // 000000005C48: D0C40058 00010521
	v_cmp_gt_i32_e64 s[90:91], v33, 3                          // 000000005C50: D0C4005A 00010721
	v_cndmask_b32_e64 v66, v66, v178, s[88:89]                 // 000000005C58: D1000042 01636542
	v_cndmask_b32_e64 v67, v67, v178, s[90:91]                 // 000000005C60: D1000043 016B6543
	s_mov_b32 s61, 64                                          // 000000005C68: BEBD00C0
	v_add_i32 v33, v32, s61                                    // 000000005C6C: D29C0021 00007B20
	v_cmp_gt_i32_e64 s[88:89], v33, 0                          // 000000005C74: D0C40058 00010121
	v_cmp_gt_i32_e64 s[90:91], v33, 1                          // 000000005C7C: D0C4005A 00010321
	v_cndmask_b32_e64 v68, v68, v178, s[88:89]                 // 000000005C84: D1000044 01636544
	v_cndmask_b32_e64 v69, v69, v178, s[90:91]                 // 000000005C8C: D1000045 016B6545
	v_cmp_gt_i32_e64 s[88:89], v33, 2                          // 000000005C94: D0C40058 00010521
	v_cmp_gt_i32_e64 s[90:91], v33, 3                          // 000000005C9C: D0C4005A 00010721
	v_cndmask_b32_e64 v70, v70, v178, s[88:89]                 // 000000005CA4: D1000046 01636546
	v_cndmask_b32_e64 v71, v71, v178, s[90:91]                 // 000000005CAC: D1000047 016B6547
	s_mov_b32 s61, 0x80                                        // 000000005CB4: BEBD00FF 00000080
	v_add_i32 v33, v32, s61                                    // 000000005CBC: D29C0021 00007B20
	v_cmp_gt_i32_e64 s[88:89], v33, 0                          // 000000005CC4: D0C40058 00010121
	v_cmp_gt_i32_e64 s[90:91], v33, 1                          // 000000005CCC: D0C4005A 00010321
	v_cndmask_b32_e64 v72, v72, v178, s[88:89]                 // 000000005CD4: D1000048 01636548
	v_cndmask_b32_e64 v73, v73, v178, s[90:91]                 // 000000005CDC: D1000049 016B6549
	v_cmp_gt_i32_e64 s[88:89], v33, 2                          // 000000005CE4: D0C40058 00010521
	v_cmp_gt_i32_e64 s[90:91], v33, 3                          // 000000005CEC: D0C4005A 00010721
	v_cndmask_b32_e64 v74, v74, v178, s[88:89]                 // 000000005CF4: D100004A 0163654A
	v_cndmask_b32_e64 v75, v75, v178, s[90:91]                 // 000000005CFC: D100004B 016B654B

0000000000005d04 <label_0741>:
	s_cmp_lt_i32 s101, 0xc0                                    // 000000005D04: BF04FF65 000000C0
	s_cbranch_scc0 label_07BA                                  // 000000005D0C: BF84006D
	s_cmp_le_i32 s101, 64                                      // 000000005D10: BF05C065
	s_cbranch_scc1 label_074D                                  // 000000005D14: BF850007
	s_cmp_le_i32 s101, 0x80                                    // 000000005D18: BF05FF65 00000080
	s_cbranch_scc1 label_0771                                  // 000000005D20: BF85001F
	s_cmp_lt_i32 s101, 0xc0                                    // 000000005D24: BF04FF65 000000C0
	s_cbranch_scc1 label_0795                                  // 000000005D2C: BF850040
	s_branch label_07BA                                        // 000000005D30: BF820064

0000000000005d34 <label_074D>:
	s_mov_b32 s60, 0                                           // 000000005D34: BEBC0080
	v_and_b32_e32 v32, 15, v0                                  // 000000005D38: 2640008F
	v_add_u32_e64 v32, v32, s60                                // 000000005D3C: D1340020 00007920
	v_mul_i32_i24_e64 v33, s46, 16                             // 000000005D44: D1060021 0001202E
	v_add_u32_e32 v32, v32, v33                                // 000000005D4C: 68404320
	v_cmp_lt_u32_e64 s[60:61], v32, s101                       // 000000005D50: D0C9003C 0000CB20
	s_nop 1                                                    // 000000005D58: BF800001
	v_cndmask_b32_e64 v52, v178, v52, s[60:61]                 // 000000005D5C: D1000034 00F269B2
	v_cndmask_b32_e64 v64, v178, v64, s[60:61]                 // 000000005D64: D1000040 00F281B2
	v_cndmask_b32_e64 v53, v178, v53, s[60:61]                 // 000000005D6C: D1000035 00F26BB2
	v_cndmask_b32_e64 v65, v178, v65, s[60:61]                 // 000000005D74: D1000041 00F283B2
	v_cndmask_b32_e64 v54, v178, v54, s[60:61]                 // 000000005D7C: D1000036 00F26DB2
	v_cndmask_b32_e64 v66, v178, v66, s[60:61]                 // 000000005D84: D1000042 00F285B2
	v_cndmask_b32_e64 v55, v178, v55, s[60:61]                 // 000000005D8C: D1000037 00F26FB2
	v_cndmask_b32_e64 v67, v178, v67, s[60:61]                 // 000000005D94: D1000043 00F287B2
	s_branch label_078C                                        // 000000005D9C: BF82001B

0000000000005da0 <label_0771>:
	s_mov_b32 s60, 64                                          // 000000005DA0: BEBC00C0
	v_and_b32_e32 v32, 15, v0                                  // 000000005DA4: 2640008F
	v_add_u32_e64 v32, v32, s60                                // 000000005DA8: D1340020 00007920
	v_mul_i32_i24_e64 v33, s46, 16                             // 000000005DB0: D1060021 0001202E
	v_add_u32_e32 v32, v32, v33                                // 000000005DB8: 68404320
	v_cmp_lt_u32_e64 s[60:61], v32, s101                       // 000000005DBC: D0C9003C 0000CB20
	s_nop 1                                                    // 000000005DC4: BF800001
	v_cndmask_b32_e64 v56, v178, v56, s[60:61]                 // 000000005DC8: D1000038 00F271B2
	v_cndmask_b32_e64 v68, v178, v68, s[60:61]                 // 000000005DD0: D1000044 00F289B2
	v_cndmask_b32_e64 v57, v178, v57, s[60:61]                 // 000000005DD8: D1000039 00F273B2
	v_cndmask_b32_e64 v69, v178, v69, s[60:61]                 // 000000005DE0: D1000045 00F28BB2
	v_cndmask_b32_e64 v58, v178, v58, s[60:61]                 // 000000005DE8: D100003A 00F275B2
	v_cndmask_b32_e64 v70, v178, v70, s[60:61]                 // 000000005DF0: D1000046 00F28DB2
	v_cndmask_b32_e64 v59, v178, v59, s[60:61]                 // 000000005DF8: D100003B 00F277B2
	v_cndmask_b32_e64 v71, v178, v71, s[60:61]                 // 000000005E00: D1000047 00F28FB2
	s_branch label_07B1                                        // 000000005E08: BF820025

0000000000005e0c <label_078C>:
	v_mov_b32_e32 v56, v178                                    // 000000005E0C: 7E7003B2
	v_mov_b32_e32 v68, v178                                    // 000000005E10: 7E8803B2
	v_mov_b32_e32 v57, v178                                    // 000000005E14: 7E7203B2
	v_mov_b32_e32 v69, v178                                    // 000000005E18: 7E8A03B2
	v_mov_b32_e32 v58, v178                                    // 000000005E1C: 7E7403B2
	v_mov_b32_e32 v70, v178                                    // 000000005E20: 7E8C03B2
	v_mov_b32_e32 v59, v178                                    // 000000005E24: 7E7603B2
	v_mov_b32_e32 v71, v178                                    // 000000005E28: 7E8E03B2
	s_branch label_07B1                                        // 000000005E2C: BF82001C

0000000000005e30 <label_0795>:
	s_mov_b32 s60, 0x80                                        // 000000005E30: BEBC00FF 00000080
	v_and_b32_e32 v32, 15, v0                                  // 000000005E38: 2640008F
	v_add_u32_e64 v32, v32, s60                                // 000000005E3C: D1340020 00007920
	v_mul_i32_i24_e64 v33, s46, 16                             // 000000005E44: D1060021 0001202E
	v_add_u32_e32 v32, v32, v33                                // 000000005E4C: 68404320
	v_cmp_lt_u32_e64 s[60:61], v32, s101                       // 000000005E50: D0C9003C 0000CB20
	s_nop 1                                                    // 000000005E58: BF800001
	v_cndmask_b32_e64 v60, v178, v60, s[60:61]                 // 000000005E5C: D100003C 00F279B2
	v_cndmask_b32_e64 v72, v178, v72, s[60:61]                 // 000000005E64: D1000048 00F291B2
	v_cndmask_b32_e64 v61, v178, v61, s[60:61]                 // 000000005E6C: D100003D 00F27BB2
	v_cndmask_b32_e64 v73, v178, v73, s[60:61]                 // 000000005E74: D1000049 00F293B2
	v_cndmask_b32_e64 v62, v178, v62, s[60:61]                 // 000000005E7C: D100003E 00F27DB2
	v_cndmask_b32_e64 v74, v178, v74, s[60:61]                 // 000000005E84: D100004A 00F295B2
	v_cndmask_b32_e64 v63, v178, v63, s[60:61]                 // 000000005E8C: D100003F 00F27FB2
	v_cndmask_b32_e64 v75, v178, v75, s[60:61]                 // 000000005E94: D100004B 00F297B2
	s_branch label_07BA                                        // 000000005E9C: BF820009

0000000000005ea0 <label_07B1>:
	v_mov_b32_e32 v60, v178                                    // 000000005EA0: 7E7803B2
	v_mov_b32_e32 v72, v178                                    // 000000005EA4: 7E9003B2
	v_mov_b32_e32 v61, v178                                    // 000000005EA8: 7E7A03B2
	v_mov_b32_e32 v73, v178                                    // 000000005EAC: 7E9203B2
	v_mov_b32_e32 v62, v178                                    // 000000005EB0: 7E7C03B2
	v_mov_b32_e32 v74, v178                                    // 000000005EB4: 7E9403B2
	v_mov_b32_e32 v63, v178                                    // 000000005EB8: 7E7E03B2
	v_mov_b32_e32 v75, v178                                    // 000000005EBC: 7E9603B2
	s_branch label_07BA                                        // 000000005EC0: BF820000

0000000000005ec4 <label_07BA>:
	s_addk_i32 s74, 0x1                                        // 000000005EC4: B74A0001
	s_waitcnt lgkmcnt(8)                                       // 000000005EC8: BF8CC87F
	s_barrier                                                  // 000000005ECC: BF8A0000
	v_mfma_f32_16x16x16_f16 v[76:79], v[108:109], a[72:73], 0  // 000000005ED0: D3CD004C 1202916C
	ds_read_b128 a[96:99], v14 offset:4352                     // 000000005ED8: DBFE1100 6000000E
	ds_read_b128 a[100:103], v14 offset:4864                   // 000000005EE0: DBFE1300 6400000E
	v_mfma_f32_16x16x16_f16 v[76:79], v[110:111], a[74:75], v[76:79]// 000000005EE8: D3CD004C 1532956E
	v_fma_f32 v52, v52, s57, -v140                             // 000000005EF0: D1CB0034 86307334
	v_fma_f32 v53, v53, s57, -v141                             // 000000005EF8: D1CB0035 86347335
	v_fma_f32 v54, v54, s57, -v142                             // 000000005F00: D1CB0036 86387336
	v_fma_f32 v55, v55, s57, -v143                             // 000000005F08: D1CB0037 863C7337
	v_fma_f32 v56, v56, s57, -v140                             // 000000005F10: D1CB0038 86307338
	v_fma_f32 v57, v57, s57, -v141                             // 000000005F18: D1CB0039 86347339
	v_mfma_f32_16x16x16_f16 v[76:79], v[112:113], a[76:77], v[76:79]// 000000005F20: D3CD004C 15329970
	v_fma_f32 v58, v58, s57, -v142                             // 000000005F28: D1CB003A 8638733A
	v_fma_f32 v59, v59, s57, -v143                             // 000000005F30: D1CB003B 863C733B
	v_fma_f32 v60, v60, s57, -v140                             // 000000005F38: D1CB003C 8630733C
	v_fma_f32 v61, v61, s57, -v141                             // 000000005F40: D1CB003D 8634733D
	v_fma_f32 v62, v62, s57, -v142                             // 000000005F48: D1CB003E 8638733E
	v_fma_f32 v63, v63, s57, -v143                             // 000000005F50: D1CB003F 863C733F
	v_mfma_f32_16x16x16_f16 v[76:79], v[114:115], a[78:79], v[76:79]// 000000005F58: D3CD004C 15329D72
	v_fma_f32 v64, v64, s57, -v144                             // 000000005F60: D1CB0040 86407340
	v_fma_f32 v65, v65, s57, -v145                             // 000000005F68: D1CB0041 86447341
	v_fma_f32 v66, v66, s57, -v146                             // 000000005F70: D1CB0042 86487342
	v_fma_f32 v67, v67, s57, -v147                             // 000000005F78: D1CB0043 864C7343
	v_fma_f32 v68, v68, s57, -v144                             // 000000005F80: D1CB0044 86407344
	v_fma_f32 v69, v69, s57, -v145                             // 000000005F88: D1CB0045 86447345
	v_mfma_f32_16x16x16_f16 v[80:83], v[108:109], a[80:81], 0  // 000000005F90: D3CD0050 1202A16C
	ds_read_b128 a[104:107], v14 offset:6528                   // 000000005F98: DBFE1980 6800000E
	ds_read_b128 a[108:111], v14 offset:7040                   // 000000005FA0: DBFE1B80 6C00000E
	v_mfma_f32_16x16x16_f16 v[80:83], v[110:111], a[82:83], v[80:83]// 000000005FA8: D3CD0050 1542A56E
	v_fma_f32 v70, v70, s57, -v146                             // 000000005FB0: D1CB0046 86487346
	v_fma_f32 v71, v71, s57, -v147                             // 000000005FB8: D1CB0047 864C7347
	v_fma_f32 v72, v72, s57, -v144                             // 000000005FC0: D1CB0048 86407348
	v_fma_f32 v73, v73, s57, -v145                             // 000000005FC8: D1CB0049 86447349
	v_fma_f32 v74, v74, s57, -v146                             // 000000005FD0: D1CB004A 8648734A
	v_fma_f32 v75, v75, s57, -v147                             // 000000005FD8: D1CB004B 864C734B
	v_mfma_f32_16x16x16_f16 v[80:83], v[112:113], a[84:85], v[80:83]// 000000005FE0: D3CD0050 1542A970
	v_exp_f32_e32 v52, v52                                     // 000000005FE8: 7E684134
	v_exp_f32_e32 v53, v53                                     // 000000005FEC: 7E6A4135
	v_mfma_f32_16x16x16_f16 v[80:83], v[114:115], a[86:87], v[80:83]// 000000005FF0: D3CD0050 1542AD72
	v_exp_f32_e32 v54, v54                                     // 000000005FF8: 7E6C4136
	v_exp_f32_e32 v55, v55                                     // 000000005FFC: 7E6E4137
	v_mfma_f32_16x16x16_f16 v[84:87], v[108:109], a[88:89], 0  // 000000006000: D3CD0054 1202B16C
	ds_read_b64 v[156:157], v21 offset:31232                   // 000000006008: D8EC7A00 9C000015
	ds_read_b64 v[158:159], v21 offset:33280                   // 000000006010: D8EC8200 9E000015
	v_mfma_f32_16x16x16_f16 v[84:87], v[110:111], a[90:91], v[84:87]// 000000006018: D3CD0054 1552B56E
	v_exp_f32_e32 v56, v56                                     // 000000006020: 7E704138
	v_exp_f32_e32 v57, v57                                     // 000000006024: 7E724139
	v_mfma_f32_16x16x16_f16 v[84:87], v[112:113], a[92:93], v[84:87]// 000000006028: D3CD0054 1552B970
	ds_read_b64 v[160:161], v21 offset:35328                   // 000000006030: D8EC8A00 A0000015
	ds_read_b64 v[162:163], v21 offset:37376                   // 000000006038: D8EC9200 A2000015
	v_mfma_f32_16x16x16_f16 v[84:87], v[114:115], a[94:95], v[84:87]// 000000006040: D3CD0054 1552BD72
	v_exp_f32_e32 v58, v58                                     // 000000006048: 7E74413A
	v_exp_f32_e32 v59, v59                                     // 00000000604C: 7E76413B
	v_mfma_f32_16x16x16_f16 v[88:91], v[116:117], a[72:73], 0  // 000000006050: D3CD0058 12029174
	v_exp_f32_e32 v60, v60                                     // 000000006058: 7E78413C
	v_exp_f32_e32 v61, v61                                     // 00000000605C: 7E7A413D
	v_mfma_f32_16x16x16_f16 v[88:91], v[118:119], a[74:75], v[88:91]// 000000006060: D3CD0058 15629576
	v_exp_f32_e32 v62, v62                                     // 000000006068: 7E7C413E
	v_exp_f32_e32 v63, v63                                     // 00000000606C: 7E7E413F
	v_mfma_f32_16x16x16_f16 v[88:91], v[120:121], a[76:77], v[88:91]// 000000006070: D3CD0058 15629978
	v_exp_f32_e32 v64, v64                                     // 000000006078: 7E804140
	v_exp_f32_e32 v65, v65                                     // 00000000607C: 7E824141
	v_mfma_f32_16x16x16_f16 v[88:91], v[122:123], a[78:79], v[88:91]// 000000006080: D3CD0058 15629D7A
	v_exp_f32_e32 v66, v66                                     // 000000006088: 7E844142
	v_exp_f32_e32 v67, v67                                     // 00000000608C: 7E864143
	v_mfma_f32_16x16x16_f16 v[92:95], v[116:117], a[80:81], 0  // 000000006090: D3CD005C 1202A174
	v_exp_f32_e32 v68, v68                                     // 000000006098: 7E884144
	v_exp_f32_e32 v69, v69                                     // 00000000609C: 7E8A4145
	v_mfma_f32_16x16x16_f16 v[92:95], v[118:119], a[82:83], v[92:95]// 0000000060A0: D3CD005C 1572A576
	v_exp_f32_e32 v70, v70                                     // 0000000060A8: 7E8C4146
	v_exp_f32_e32 v71, v71                                     // 0000000060AC: 7E8E4147
	v_mfma_f32_16x16x16_f16 v[92:95], v[120:121], a[84:85], v[92:95]// 0000000060B0: D3CD005C 1572A978
	v_exp_f32_e32 v72, v72                                     // 0000000060B8: 7E904148
	v_exp_f32_e32 v73, v73                                     // 0000000060BC: 7E924149
	v_mfma_f32_16x16x16_f16 v[92:95], v[122:123], a[86:87], v[92:95]// 0000000060C0: D3CD005C 1572AD7A
	v_exp_f32_e32 v74, v74                                     // 0000000060C8: 7E94414A
	v_exp_f32_e32 v75, v75                                     // 0000000060CC: 7E96414B
	v_mfma_f32_16x16x16_f16 v[96:99], v[116:117], a[88:89], 0  // 0000000060D0: D3CD0060 1202B174
	v_cvt_pkrtz_f16_f32 v164, v52, v53                         // 0000000060D8: D29600A4 00026B34
	v_cvt_pkrtz_f16_f32 v165, v54, v55                         // 0000000060E0: D29600A5 00026F36
	v_cvt_pkrtz_f16_f32 v166, v56, v57                         // 0000000060E8: D29600A6 00027338
	v_cvt_pkrtz_f16_f32 v167, v58, v59                         // 0000000060F0: D29600A7 0002773A
	v_cvt_pkrtz_f16_f32 v168, v60, v61                         // 0000000060F8: D29600A8 00027B3C
	v_cvt_pkrtz_f16_f32 v169, v62, v63                         // 000000006100: D29600A9 00027F3E
	v_mfma_f32_16x16x16_f16 v[96:99], v[118:119], a[90:91], v[96:99]// 000000006108: D3CD0060 1582B576
	v_cvt_pkrtz_f16_f32 v170, v64, v65                         // 000000006110: D29600AA 00028340
	v_cvt_pkrtz_f16_f32 v171, v66, v67                         // 000000006118: D29600AB 00028742
	v_cvt_pkrtz_f16_f32 v172, v68, v69                         // 000000006120: D29600AC 00028B44
	v_cvt_pkrtz_f16_f32 v173, v70, v71                         // 000000006128: D29600AD 00028F46
	v_cvt_pkrtz_f16_f32 v174, v72, v73                         // 000000006130: D29600AE 00029348
	v_cvt_pkrtz_f16_f32 v175, v74, v75                         // 000000006138: D29600AF 0002974A
	v_mfma_f32_16x16x16_f16 v[96:99], v[120:121], a[92:93], v[96:99]// 000000006140: D3CD0060 1582B978
	v_add_u32_e32 v6, s66, v6                                  // 000000006148: 680C0C42
	v_add_u32_e32 v7, s66, v7                                  // 00000000614C: 680E0E42
	v_add_u32_e32 v8, s66, v8                                  // 000000006150: 68101042
	v_add_u32_e32 v9, s66, v9                                  // 000000006154: 68121242
	v_mfma_f32_16x16x16_f16 v[96:99], v[122:123], a[94:95], v[96:99]// 000000006158: D3CD0060 1582BD7A
	s_waitcnt lgkmcnt(0)                                       // 000000006160: BF8CC07F
	s_barrier                                                  // 000000006164: BF8A0000
	v_mfma_f32_16x16x16_f16 v[180:183], v[124:125], v[164:165], v[180:183]// 000000006168: D3CD00B4 06D3497C
	v_subrev_f32_dpp v76, v176, v76 quad_perm:[0,0,0,0] row_mask:0xf bank_mask:0xf// 000000006170: 069898FA FF0000B0
	v_subrev_f32_dpp v77, v176, v77 quad_perm:[1,1,1,1] row_mask:0xf bank_mask:0xf// 000000006178: 069A9AFA FF0055B0
	v_subrev_f32_dpp v78, v176, v78 quad_perm:[2,2,2,2] row_mask:0xf bank_mask:0xf// 000000006180: 069C9CFA FF00AAB0
	v_subrev_f32_dpp v79, v176, v79 quad_perm:[3,3,3,3] row_mask:0xf bank_mask:0xf// 000000006188: 069E9EFA FF00FFB0
	v_subrev_f32_dpp v80, v176, v80 quad_perm:[0,0,0,0] row_mask:0xf bank_mask:0xf// 000000006190: 06A0A0FA FF0000B0
	v_subrev_f32_dpp v81, v176, v81 quad_perm:[1,1,1,1] row_mask:0xf bank_mask:0xf// 000000006198: 06A2A2FA FF0055B0
	v_mfma_f32_16x16x16_f16 v[184:187], v[126:127], v[164:165], v[184:187]// 0000000061A0: D3CD00B8 06E3497E
	v_subrev_f32_dpp v82, v176, v82 quad_perm:[2,2,2,2] row_mask:0xf bank_mask:0xf// 0000000061A8: 06A4A4FA FF00AAB0
	v_subrev_f32_dpp v83, v176, v83 quad_perm:[3,3,3,3] row_mask:0xf bank_mask:0xf// 0000000061B0: 06A6A6FA FF00FFB0
	v_subrev_f32_dpp v84, v176, v84 quad_perm:[0,0,0,0] row_mask:0xf bank_mask:0xf// 0000000061B8: 06A8A8FA FF0000B0
	v_subrev_f32_dpp v85, v176, v85 quad_perm:[1,1,1,1] row_mask:0xf bank_mask:0xf// 0000000061C0: 06AAAAFA FF0055B0
	v_subrev_f32_dpp v86, v176, v86 quad_perm:[2,2,2,2] row_mask:0xf bank_mask:0xf// 0000000061C8: 06ACACFA FF00AAB0
	v_subrev_f32_dpp v87, v176, v87 quad_perm:[3,3,3,3] row_mask:0xf bank_mask:0xf// 0000000061D0: 06AEAEFA FF00FFB0
	v_mfma_f32_16x16x16_f16 v[188:191], v[128:129], v[164:165], v[188:191]// 0000000061D8: D3CD00BC 06F34980
	v_mul_f32_e32 v76, v52, v76                                // 0000000061E0: 0A989934
	v_mul_f32_e32 v77, v53, v77                                // 0000000061E4: 0A9A9B35
	v_mul_f32_e32 v78, v54, v78                                // 0000000061E8: 0A9C9D36
	v_mul_f32_e32 v79, v55, v79                                // 0000000061EC: 0A9E9F37
	v_mul_f32_e32 v80, v56, v80                                // 0000000061F0: 0AA0A138
	v_mul_f32_e32 v81, v57, v81                                // 0000000061F4: 0AA2A339
	v_mfma_f32_16x16x16_f16 v[192:195], v[130:131], v[164:165], v[192:195]// 0000000061F8: D3CD00C0 07034982
	v_mul_f32_e32 v82, v58, v82                                // 000000006200: 0AA4A53A
	v_mul_f32_e32 v83, v59, v83                                // 000000006204: 0AA6A73B
	v_mul_f32_e32 v84, v60, v84                                // 000000006208: 0AA8A93C
	v_mul_f32_e32 v85, v61, v85                                // 00000000620C: 0AAAAB3D
	v_mul_f32_e32 v86, v62, v86                                // 000000006210: 0AACAD3E
	v_mul_f32_e32 v87, v63, v87                                // 000000006214: 0AAEAF3F
	v_mfma_f32_16x16x16_f16 v[196:199], v[124:125], v[166:167], v[196:199]// 000000006218: D3CD00C4 07134D7C
	v_cvt_pkrtz_f16_f32 v76, v76, v77                          // 000000006220: D296004C 00029B4C
	v_cvt_pkrtz_f16_f32 v77, v78, v79                          // 000000006228: D296004D 00029F4E
	v_cvt_pkrtz_f16_f32 v78, v80, v81                          // 000000006230: D296004E 0002A350
	v_cvt_pkrtz_f16_f32 v79, v82, v83                          // 000000006238: D296004F 0002A752
	v_cvt_pkrtz_f16_f32 v80, v84, v85                          // 000000006240: D2960050 0002AB54
	v_cvt_pkrtz_f16_f32 v81, v86, v87                          // 000000006248: D2960051 0002AF56
	v_mfma_f32_16x16x16_f16 v[200:203], v[126:127], v[166:167], v[200:203]// 000000006250: D3CD00C8 07234D7E
	v_mov_b32_dpp v18, v76 quad_perm:[1,0,3,2] row_mask:0xf bank_mask:0xf// 000000006258: 7E2402FA FF00B14C
	v_perm_b32 v52, v18, v76, v17                              // 000000006260: D1ED0034 04469912
	v_mov_b32_dpp v18, v77 quad_perm:[1,0,3,2] row_mask:0xf bank_mask:0xf// 000000006268: 7E2402FA FF00B14D
	v_perm_b32 v53, v18, v77, v17                              // 000000006270: D1ED0035 04469B12
	v_mov_b32_dpp v18, v78 quad_perm:[1,0,3,2] row_mask:0xf bank_mask:0xf// 000000006278: 7E2402FA FF00B14E
	v_perm_b32 v54, v18, v78, v17                              // 000000006280: D1ED0036 04469D12
	v_mfma_f32_16x16x16_f16 v[204:207], v[128:129], v[166:167], v[204:207]// 000000006288: D3CD00CC 07334D80
	v_mov_b32_dpp v18, v79 quad_perm:[1,0,3,2] row_mask:0xf bank_mask:0xf// 000000006290: 7E2402FA FF00B14F
	v_perm_b32 v55, v18, v79, v17                              // 000000006298: D1ED0037 04469F12
	v_mov_b32_dpp v18, v80 quad_perm:[1,0,3,2] row_mask:0xf bank_mask:0xf// 0000000062A0: 7E2402FA FF00B150
	v_perm_b32 v56, v18, v80, v17                              // 0000000062A8: D1ED0038 0446A112
	v_mov_b32_dpp v18, v81 quad_perm:[1,0,3,2] row_mask:0xf bank_mask:0xf// 0000000062B0: 7E2402FA FF00B151
	v_perm_b32 v57, v18, v81, v17                              // 0000000062B8: D1ED0039 0446A312
	v_mfma_f32_16x16x16_f16 v[208:211], v[130:131], v[166:167], v[208:211]// 0000000062C0: D3CD00D0 07434D82
	ds_write_b32 v20, v52 offset:17408                         // 0000000062C8: D81A4400 00003414
	ds_write_b32 v20, v53 offset:17952                         // 0000000062D0: D81A4620 00003514
	v_mfma_f32_16x16x16_f16 v[212:215], v[124:125], v[168:169], v[212:215]// 0000000062D8: D3CD00D4 0753517C
	v_subrev_f32_dpp v88, v177, v88 quad_perm:[0,0,0,0] row_mask:0xf bank_mask:0xf// 0000000062E0: 06B0B0FA FF0000B1
	v_subrev_f32_dpp v89, v177, v89 quad_perm:[1,1,1,1] row_mask:0xf bank_mask:0xf// 0000000062E8: 06B2B2FA FF0055B1
	v_subrev_f32_dpp v90, v177, v90 quad_perm:[2,2,2,2] row_mask:0xf bank_mask:0xf// 0000000062F0: 06B4B4FA FF00AAB1
	v_subrev_f32_dpp v91, v177, v91 quad_perm:[3,3,3,3] row_mask:0xf bank_mask:0xf// 0000000062F8: 06B6B6FA FF00FFB1
	v_subrev_f32_dpp v92, v177, v92 quad_perm:[0,0,0,0] row_mask:0xf bank_mask:0xf// 000000006300: 06B8B8FA FF0000B1
	v_subrev_f32_dpp v93, v177, v93 quad_perm:[1,1,1,1] row_mask:0xf bank_mask:0xf// 000000006308: 06BABAFA FF0055B1
	v_mfma_f32_16x16x16_f16 v[216:219], v[126:127], v[168:169], v[216:219]// 000000006310: D3CD00D8 0763517E
	ds_write_b32 v20, v54 offset:19712                         // 000000006318: D81A4D00 00003614
	ds_write_b32 v20, v55 offset:20256                         // 000000006320: D81A4F20 00003714
	v_mfma_f32_16x16x16_f16 v[220:223], v[128:129], v[168:169], v[220:223]// 000000006328: D3CD00DC 07735180
	v_subrev_f32_dpp v94, v177, v94 quad_perm:[2,2,2,2] row_mask:0xf bank_mask:0xf// 000000006330: 06BCBCFA FF00AAB1
	v_subrev_f32_dpp v95, v177, v95 quad_perm:[3,3,3,3] row_mask:0xf bank_mask:0xf// 000000006338: 06BEBEFA FF00FFB1
	v_subrev_f32_dpp v96, v177, v96 quad_perm:[0,0,0,0] row_mask:0xf bank_mask:0xf// 000000006340: 06C0C0FA FF0000B1
	v_subrev_f32_dpp v97, v177, v97 quad_perm:[1,1,1,1] row_mask:0xf bank_mask:0xf// 000000006348: 06C2C2FA FF0055B1
	v_subrev_f32_dpp v98, v177, v98 quad_perm:[2,2,2,2] row_mask:0xf bank_mask:0xf// 000000006350: 06C4C4FA FF00AAB1
	v_subrev_f32_dpp v99, v177, v99 quad_perm:[3,3,3,3] row_mask:0xf bank_mask:0xf// 000000006358: 06C6C6FA FF00FFB1
	v_mfma_f32_16x16x16_f16 v[224:227], v[130:131], v[168:169], v[224:227]// 000000006360: D3CD00E0 07835182
	ds_write_b32 v20, v56 offset:22016                         // 000000006368: D81A5600 00003814
	ds_write_b32 v20, v57 offset:22560                         // 000000006370: D81A5820 00003914
	v_mfma_f32_16x16x16_f16 v[180:183], v[132:133], v[170:171], v[180:183]// 000000006378: D3CD00B4 06D35584
	v_mul_f32_e32 v88, v64, v88                                // 000000006380: 0AB0B140
	v_mul_f32_e32 v89, v65, v89                                // 000000006384: 0AB2B341
	v_mul_f32_e32 v90, v66, v90                                // 000000006388: 0AB4B542
	v_mul_f32_e32 v91, v67, v91                                // 00000000638C: 0AB6B743
	v_mul_f32_e32 v92, v68, v92                                // 000000006390: 0AB8B944
	v_mul_f32_e32 v93, v69, v93                                // 000000006394: 0ABABB45
	v_mfma_f32_16x16x16_f16 v[184:187], v[134:135], v[170:171], v[184:187]// 000000006398: D3CD00B8 06E35586
	v_mul_f32_e32 v94, v70, v94                                // 0000000063A0: 0ABCBD46
	v_mul_f32_e32 v95, v71, v95                                // 0000000063A4: 0ABEBF47
	v_mul_f32_e32 v96, v72, v96                                // 0000000063A8: 0AC0C148
	v_mul_f32_e32 v97, v73, v97                                // 0000000063AC: 0AC2C349
	v_mul_f32_e32 v98, v74, v98                                // 0000000063B0: 0AC4C54A
	v_mul_f32_e32 v99, v75, v99                                // 0000000063B4: 0AC6C74B
	v_mfma_f32_16x16x16_f16 v[188:191], v[136:137], v[170:171], v[188:191]// 0000000063B8: D3CD00BC 06F35588
	v_cvt_pkrtz_f16_f32 v82, v88, v89                          // 0000000063C0: D2960052 0002B358
	v_cvt_pkrtz_f16_f32 v83, v90, v91                          // 0000000063C8: D2960053 0002B75A
	v_cvt_pkrtz_f16_f32 v84, v92, v93                          // 0000000063D0: D2960054 0002BB5C
	v_cvt_pkrtz_f16_f32 v85, v94, v95                          // 0000000063D8: D2960055 0002BF5E
	v_cvt_pkrtz_f16_f32 v86, v96, v97                          // 0000000063E0: D2960056 0002C360
	v_cvt_pkrtz_f16_f32 v87, v98, v99                          // 0000000063E8: D2960057 0002C762
	v_mfma_f32_16x16x16_f16 v[192:195], v[138:139], v[170:171], v[192:195]// 0000000063F0: D3CD00C0 0703558A
	v_mov_b32_dpp v18, v82 quad_perm:[1,0,3,2] row_mask:0xf bank_mask:0xf// 0000000063F8: 7E2402FA FF00B152
	v_perm_b32 v58, v18, v82, v17                              // 000000006400: D1ED003A 0446A512
	v_mov_b32_dpp v18, v83 quad_perm:[1,0,3,2] row_mask:0xf bank_mask:0xf// 000000006408: 7E2402FA FF00B153
	v_perm_b32 v59, v18, v83, v17                              // 000000006410: D1ED003B 0446A712
	v_mov_b32_dpp v18, v84 quad_perm:[1,0,3,2] row_mask:0xf bank_mask:0xf// 000000006418: 7E2402FA FF00B154
	v_perm_b32 v60, v18, v84, v17                              // 000000006420: D1ED003C 0446A912
	v_mfma_f32_16x16x16_f16 v[196:199], v[132:133], v[172:173], v[196:199]// 000000006428: D3CD00C4 07135984
	v_mov_b32_dpp v18, v85 quad_perm:[1,0,3,2] row_mask:0xf bank_mask:0xf// 000000006430: 7E2402FA FF00B155
	v_perm_b32 v61, v18, v85, v17                              // 000000006438: D1ED003D 0446AB12
	v_mov_b32_dpp v18, v86 quad_perm:[1,0,3,2] row_mask:0xf bank_mask:0xf// 000000006440: 7E2402FA FF00B156
	v_perm_b32 v62, v18, v86, v17                              // 000000006448: D1ED003E 0446AD12
	v_mov_b32_dpp v18, v87 quad_perm:[1,0,3,2] row_mask:0xf bank_mask:0xf// 000000006450: 7E2402FA FF00B157
	v_perm_b32 v63, v18, v87, v17                              // 000000006458: D1ED003F 0446AF12
	v_mfma_f32_16x16x16_f16 v[200:203], v[134:135], v[172:173], v[200:203]// 000000006460: D3CD00C8 07235986
	ds_write_b32 v20, v58 offset:24320                         // 000000006468: D81A5F00 00003A14
	ds_write_b32 v20, v59 offset:24864                         // 000000006470: D81A6120 00003B14
	v_mfma_f32_16x16x16_f16 v[204:207], v[136:137], v[172:173], v[204:207]// 000000006478: D3CD00CC 07335988
	v_mfma_f32_16x16x16_f16 v[208:211], v[138:139], v[172:173], v[208:211]// 000000006480: D3CD00D0 0743598A
	ds_write_b32 v20, v60 offset:26624                         // 000000006488: D81A6800 00003C14
	ds_write_b32 v20, v61 offset:27168                         // 000000006490: D81A6A20 00003D14
	ds_write_b32 v20, v62 offset:28928                         // 000000006498: D81A7100 00003E14
	ds_write_b32 v20, v63 offset:29472                         // 0000000064A0: D81A7320 00003F14
	v_mfma_f32_16x16x16_f16 v[212:215], v[132:133], v[174:175], v[212:215]// 0000000064A8: D3CD00D4 07535D84
	v_mfma_f32_16x16x16_f16 v[216:219], v[134:135], v[174:175], v[216:219]// 0000000064B0: D3CD00D8 07635D86
	ds_write_b32 v15, v100 offset:4352                         // 0000000064B8: D81A1100 0000640F
	ds_write_b32 v15, v101 offset:5408                         // 0000000064C0: D81A1520 0000650F
	v_mfma_f32_16x16x16_f16 v[220:223], v[136:137], v[174:175], v[220:223]// 0000000064C8: D3CD00DC 07735D88
	s_nop 0                                                    // 0000000064D0: BF800000
	s_nop 0                                                    // 0000000064D4: BF800000
	s_nop 0                                                    // 0000000064D8: BF800000
	v_mfma_f32_16x16x16_f16 v[224:227], v[138:139], v[174:175], v[224:227]// 0000000064DC: D3CD00E0 07835D8A
	ds_write_b32 v15, v102 offset:6528                         // 0000000064E4: D81A1980 0000660F
	ds_write_b32 v15, v103 offset:7584                         // 0000000064EC: D81A1DA0 0000670F
	s_barrier                                                  // 0000000064F4: BF8A0000
	v_mfma_f32_16x16x16_f16 a[112:115], a[96:97], v[76:77], a[112:115]// 0000000064F8: D3CD8070 0DC29960
	buffer_atomic_add_f32 v156, v6, s[32:35], 0 idxen          // 000000006500: E1342000 80089C06
	v_mfma_f32_16x16x16_f16 a[116:119], a[98:99], v[76:77], a[116:119]// 000000006508: D3CD8074 0DD29962
	ds_read_b32 v140, v23 offset:39936                         // 000000006510: D86C9C00 8C000017
	ds_read_b32 v144, v23 offset:40000                         // 000000006518: D86C9C40 90000017
	ds_read_b32 v176, v23 offset:40192                         // 000000006520: D86C9D00 B0000017
	ds_read_b32 v177, v23 offset:40256                         // 000000006528: D86C9D40 B1000017
	v_mfma_f32_16x16x16_f16 a[120:123], a[100:101], v[76:77], a[120:123]// 000000006530: D3CD8078 0DE29964
	s_waitcnt lgkmcnt(8)                                       // 000000006538: BF8CC87F
	s_barrier                                                  // 00000000653C: BF8A0000
	v_mfma_f32_16x16x16_f16 a[124:127], a[102:103], v[76:77], a[124:127]// 000000006540: D3CD807C 0DF29966
	ds_read_b128 v[52:55], v19 offset:17408                    // 000000006548: D9FE4400 34000013
	v_mfma_f32_16x16x16_f16 a[128:131], a[96:97], v[78:79], a[128:131]// 000000006550: D3CD8080 0E029D60
	v_mfma_f32_16x16x16_f16 a[132:135], a[98:99], v[78:79], a[132:135]// 000000006558: D3CD8084 0E129D62
	ds_read_b128 v[56:59], v19 offset:18560                    // 000000006560: D9FE4880 38000013
	v_mfma_f32_16x16x16_f16 a[136:139], a[100:101], v[78:79], a[136:139]// 000000006568: D3CD8088 0E229D64
	buffer_atomic_add_f32 v157, v7, s[32:35], 0 idxen          // 000000006570: E1342000 80089D07
	v_mfma_f32_16x16x16_f16 a[140:143], a[102:103], v[78:79], a[140:143]// 000000006578: D3CD808C 0E329D66
	ds_read_b128 v[60:63], v19 offset:19712                    // 000000006580: D9FE4D00 3C000013
	v_mfma_f32_16x16x16_f16 a[144:147], a[96:97], v[80:81], a[144:147]// 000000006588: D3CD8090 0E42A160
	v_mfma_f32_16x16x16_f16 a[148:151], a[98:99], v[80:81], a[148:151]// 000000006590: D3CD8094 0E52A162
	ds_read_b128 v[64:67], v19 offset:20864                    // 000000006598: D9FE5180 40000013
	v_mfma_f32_16x16x16_f16 a[152:155], a[100:101], v[80:81], a[152:155]// 0000000065A0: D3CD8098 0E62A164
	v_mfma_f32_16x16x16_f16 a[156:159], a[102:103], v[80:81], a[156:159]// 0000000065A8: D3CD809C 0E72A166
	ds_read_b128 v[68:71], v19 offset:22016                    // 0000000065B0: D9FE5600 44000013
	v_mfma_f32_16x16x16_f16 a[112:115], a[104:105], v[82:83], a[112:115]// 0000000065B8: D3CD8070 0DC2A568
	buffer_atomic_add_f32 v158, v6, s[32:35], 0 idxen offset:128// 0000000065C0: E1342080 80089E06
	v_mfma_f32_16x16x16_f16 a[116:119], a[106:107], v[82:83], a[116:119]// 0000000065C8: D3CD8074 0DD2A56A
	ds_read_b128 v[72:75], v19 offset:23168                    // 0000000065D0: D9FE5A80 48000013
	v_mfma_f32_16x16x16_f16 a[120:123], a[108:109], v[82:83], a[120:123]// 0000000065D8: D3CD8078 0DE2A56C
	v_mfma_f32_16x16x16_f16 a[124:127], a[110:111], v[82:83], a[124:127]// 0000000065E0: D3CD807C 0DF2A56E
	ds_write_b32 v15, v104 offset:13056                        // 0000000065E8: D81A3300 0000680F
	v_mfma_f32_16x16x16_f16 a[128:131], a[104:105], v[84:85], a[128:131]// 0000000065F0: D3CD8080 0E02A968
	v_mfma_f32_16x16x16_f16 a[132:135], a[106:107], v[84:85], a[132:135]// 0000000065F8: D3CD8084 0E12A96A
	ds_write_b32 v15, v105 offset:14112                        // 000000006600: D81A3720 0000690F
	v_mfma_f32_16x16x16_f16 a[136:139], a[108:109], v[84:85], a[136:139]// 000000006608: D3CD8088 0E22A96C
	buffer_atomic_add_f32 v159, v7, s[32:35], 0 idxen offset:128// 000000006610: E1342080 80089F07
	v_mfma_f32_16x16x16_f16 a[140:143], a[110:111], v[84:85], a[140:143]// 000000006618: D3CD808C 0E32A96E
	ds_write_b32 v15, v106 offset:15232                        // 000000006620: D81A3B80 00006A0F
	v_mfma_f32_16x16x16_f16 a[144:147], a[104:105], v[86:87], a[144:147]// 000000006628: D3CD8090 0E42AD68
	v_mfma_f32_16x16x16_f16 a[148:151], a[106:107], v[86:87], a[148:151]// 000000006630: D3CD8094 0E52AD6A
	ds_write_b32 v15, v107 offset:16288                        // 000000006638: D81A3FA0 00006B0F
	v_mfma_f32_16x16x16_f16 a[152:155], a[108:109], v[86:87], a[152:155]// 000000006640: D3CD8098 0E62AD6C
	v_mfma_f32_16x16x16_f16 a[156:159], a[110:111], v[86:87], a[156:159]// 000000006648: D3CD809C 0E72AD6E
	s_waitcnt vmcnt(8) lgkmcnt(4)                              // 000000006650: BF8C0478
	s_barrier                                                  // 000000006654: BF8A0000
	v_mfma_f32_16x16x16_f16 v[148:151], v[52:53], a[24:25], 0  // 000000006658: D3CD0094 12023134
	v_mul_f32_e32 v140, s48, v140                              // 000000006660: 0B191830
	v_mul_f32_e32 v144, s48, v144                              // 000000006664: 0B212030
	s_nop 0                                                    // 000000006668: BF800000
	v_mfma_f32_16x16x16_f16 v[148:151], v[54:55], a[28:29], v[148:151]// 00000000666C: D3CD0094 16523936
	ds_read_b128 a[96:99], v12                                 // 000000006674: DBFE0000 6000000C
	buffer_load_dword v40, v1, s[8:11], 0 idxen                // 00000000667C: E0502000 80022801
	v_mfma_f32_16x16x16_f16 v[148:151], v[56:57], a[32:33], v[148:151]// 000000006684: D3CD0094 16524138
	v_mfma_f32_16x16x16_f16 v[148:151], v[58:59], a[36:37], v[148:151]// 00000000668C: D3CD0094 1652493A
	ds_read_b128 a[100:103], v12 offset:512                    // 000000006694: DBFE0200 6400000C
	buffer_load_dword v41, v2, s[8:11], 0 idxen                // 00000000669C: E0502000 80022902
	v_mfma_f32_16x16x16_f16 v[148:151], v[60:61], a[40:41], v[148:151]// 0000000066A4: D3CD0094 1652513C
	v_perm_b32 v100, v37, v36, s63                             // 0000000066AC: D1ED0064 00FE4925
	v_perm_b32 v101, v37, v36, s64                             // 0000000066B4: D1ED0065 01024925
	v_mfma_f32_16x16x16_f16 v[148:151], v[62:63], a[44:45], v[148:151]// 0000000066BC: D3CD0094 1652593E
	ds_read_b128 a[104:107], v12 offset:2176                   // 0000000066C4: DBFE0880 6800000C
	buffer_load_dword v42, v3, s[8:11], 0 idxen                // 0000000066CC: E0502000 80022A03
	v_mfma_f32_16x16x16_f16 v[148:151], v[64:65], a[48:49], v[148:151]// 0000000066D4: D3CD0094 16526140
	v_perm_b32 v102, v39, v38, s63                             // 0000000066DC: D1ED0066 00FE4D27
	v_perm_b32 v103, v39, v38, s64                             // 0000000066E4: D1ED0067 01024D27
	v_mfma_f32_16x16x16_f16 v[148:151], v[66:67], a[52:53], v[148:151]// 0000000066EC: D3CD0094 16526942
	ds_read_b128 a[108:111], v12 offset:2688                   // 0000000066F4: DBFE0A80 6C00000C
	buffer_load_dword v43, v4, s[8:11], 0 idxen                // 0000000066FC: E0502000 80022B04
	v_mfma_f32_16x16x16_f16 v[148:151], v[68:69], a[56:57], v[148:151]// 000000006704: D3CD0094 16527144
	v_perm_b32 v104, v45, v44, s63                             // 00000000670C: D1ED0068 00FE592D
	v_perm_b32 v105, v45, v44, s64                             // 000000006714: D1ED0069 0102592D
	v_mfma_f32_16x16x16_f16 v[148:151], v[70:71], a[60:61], v[148:151]// 00000000671C: D3CD0094 16527946
	ds_read_b128 v[108:111], v12 offset:8704                   // 000000006724: D9FE2200 6C00000C
	buffer_load_dword v48, v228, s[20:23], 0 idxen             // 00000000672C: E0502000 800530E4
	v_mfma_f32_16x16x16_f16 v[148:151], v[72:73], a[64:65], v[148:151]// 000000006734: D3CD0094 16528148
	v_perm_b32 v106, v47, v46, s63                             // 00000000673C: D1ED006A 00FE5D2F
	v_perm_b32 v107, v47, v46, s64                             // 000000006744: D1ED006B 01025D2F
	v_mfma_f32_16x16x16_f16 v[148:151], v[74:75], a[68:69], v[148:151]// 00000000674C: D3CD0094 1652894A
	ds_read_b128 v[112:115], v12 offset:9216                   // 000000006754: D9FE2400 7000000C
	buffer_load_dword v49, v229, s[20:23], 0 idxen             // 00000000675C: E0502000 800531E5
	v_mfma_f32_16x16x16_f16 v[152:155], v[52:53], a[26:27], 0  // 000000006764: D3CD0098 12023534
	v_mov_b32_dpp v143, v140 quad_perm:[3,3,3,3] row_mask:0xf bank_mask:0xf// 00000000676C: 7F1E02FA FF00FF8C
	v_mov_b32_dpp v142, v140 quad_perm:[2,2,2,2] row_mask:0xf bank_mask:0xf// 000000006774: 7F1C02FA FF00AA8C
	v_mov_b32_dpp v141, v140 quad_perm:[1,1,1,1] row_mask:0xf bank_mask:0xf// 00000000677C: 7F1A02FA FF00558C
	v_mov_b32_dpp v140, v140 quad_perm:[0,0,0,0] row_mask:0xf bank_mask:0xf// 000000006784: 7F1802FA FF00008C
	v_mfma_f32_16x16x16_f16 v[152:155], v[54:55], a[30:31], v[152:155]// 00000000678C: D3CD0098 16623D36
	ds_read_b128 v[116:119], v12 offset:10880                  // 000000006794: D9FE2A80 7400000C
	buffer_load_dword v50, v230, s[20:23], 0 idxen             // 00000000679C: E0502000 800532E6
	v_mfma_f32_16x16x16_f16 v[152:155], v[56:57], a[34:35], v[152:155]// 0000000067A4: D3CD0098 16624538
	v_mov_b32_dpp v147, v144 quad_perm:[3,3,3,3] row_mask:0xf bank_mask:0xf// 0000000067AC: 7F2602FA FF00FF90
	v_mov_b32_dpp v146, v144 quad_perm:[2,2,2,2] row_mask:0xf bank_mask:0xf// 0000000067B4: 7F2402FA FF00AA90
	v_mov_b32_dpp v145, v144 quad_perm:[1,1,1,1] row_mask:0xf bank_mask:0xf// 0000000067BC: 7F2202FA FF005590
	v_mov_b32_dpp v144, v144 quad_perm:[0,0,0,0] row_mask:0xf bank_mask:0xf// 0000000067C4: 7F2002FA FF000090
	s_add_u32 s60, 0x80, s59                                   // 0000000067CC: 803C3BFF 00000080
	v_mfma_f32_16x16x16_f16 v[152:155], v[58:59], a[38:39], v[152:155]// 0000000067D4: D3CD0098 16624D3A
	ds_read_b128 v[120:123], v12 offset:11392                  // 0000000067DC: D9FE2C80 7800000C
	buffer_load_dword v51, v231, s[20:23], 0 idxen             // 0000000067E4: E0502000 800533E7
	v_mfma_f32_16x16x16_f16 v[152:155], v[60:61], a[42:43], v[152:155]// 0000000067EC: D3CD0098 1662553C
	s_cmp_lt_u32 s60, s58                                      // 0000000067F4: BF0A3A3C
	s_cselect_b32 s68, s68, 0                                  // 0000000067F8: 85448044
	s_cselect_b32 s99, s99, 0                                  // 0000000067FC: 85638063
	s_cselect_b32 s69, s69, 0                                  // 000000006800: 85458045
	v_mfma_f32_16x16x16_f16 v[152:155], v[62:63], a[46:47], v[152:155]// 000000006804: D3CD0098 16625D3E
	buffer_load_dword v11, s[24:27], 0 idxen lds               // 00000000680C: E0512000 8006000B
	v_mfma_f32_16x16x16_f16 v[152:155], v[64:65], a[50:51], v[152:155]// 000000006814: D3CD0098 16626540
	v_add_u32_e32 v1, s68, v1                                  // 00000000681C: 68020244
	v_add_u32_e32 v2, s68, v2                                  // 000000006820: 68040444
	v_add_u32_e32 v3, s68, v3                                  // 000000006824: 68060644
	v_add_u32_e32 v4, s68, v4                                  // 000000006828: 68080844
	v_mfma_f32_16x16x16_f16 v[152:155], v[66:67], a[54:55], v[152:155]// 00000000682C: D3CD0098 16626D42
	v_add_u32_e32 v228, s99, v228                              // 000000006834: 69C9C863
	v_add_u32_e32 v229, s99, v229                              // 000000006838: 69CBCA63
	v_add_u32_e32 v230, s99, v230                              // 00000000683C: 69CDCC63
	v_add_u32_e32 v231, s99, v231                              // 000000006840: 69CFCE63
	v_mfma_f32_16x16x16_f16 v[152:155], v[68:69], a[58:59], v[152:155]// 000000006844: D3CD0098 16627544
	s_mov_b32 m0, s78                                          // 00000000684C: BEFC004E
	v_add_u32_e32 v11, s69, v11                                // 000000006850: 68161645
	v_mfma_f32_16x16x16_f16 v[152:155], v[70:71], a[62:63], v[152:155]// 000000006854: D3CD0098 16627D46
	s_cmp_ge_u32 s59, s73                                      // 00000000685C: BF09493B
	s_cselect_b32 s66, s67, s66                                // 000000006860: 85424243
	v_mfma_f32_16x16x16_f16 v[152:155], v[72:73], a[66:67], v[152:155]// 000000006864: D3CD0098 16628548
	s_addk_i32 s59, 0x20                                       // 00000000686C: B73B0020
	s_nop 0                                                    // 000000006870: BF800000
	s_cmp_lt_i32 s59, s58                                      // 000000006874: BF043A3B
	v_mfma_f32_16x16x16_f16 v[152:155], v[74:75], a[70:71], v[152:155]// 000000006878: D3CD0098 16628D4A
	s_cbranch_scc0 label_0DF8                                  // 000000006880: BF8403C5
	s_waitcnt lgkmcnt(0)                                       // 000000006884: BF8CC07F
	s_barrier                                                  // 000000006888: BF8A0000
	v_mfma_f32_16x16x16_f16 v[52:55], a[96:97], a[0:1], 0      // 00000000688C: D3CD0034 1A020160
	ds_write_b32 v13, v44 offset:8704                          // 000000006894: D81A2200 00002C0D
	ds_write_b32 v13, v45 offset:9760                          // 00000000689C: D81A2620 00002D0D
	v_mfma_f32_16x16x16_f16 v[52:55], a[98:99], a[2:3], v[52:55]// 0000000068A4: D3CD0034 1CD20562
	v_mul_f32_e32 v148, s47, v148                              // 0000000068AC: 0B29282F
	v_mul_f32_e32 v149, s47, v149                              // 0000000068B0: 0B2B2A2F
	v_mfma_f32_16x16x16_f16 v[52:55], a[100:101], a[4:5], v[52:55]// 0000000068B4: D3CD0034 1CD20964
	ds_write_b32 v13, v46 offset:10880                         // 0000000068BC: D81A2A80 00002E0D
	ds_write_b32 v13, v47 offset:11936                         // 0000000068C4: D81A2EA0 00002F0D
	v_mfma_f32_16x16x16_f16 v[52:55], a[102:103], a[6:7], v[52:55]// 0000000068CC: D3CD0034 1CD20D66
	v_mul_f32_e32 v150, s47, v150                              // 0000000068D4: 0B2D2C2F
	v_mul_f32_e32 v151, s47, v151                              // 0000000068D8: 0B2F2E2F
	v_mfma_f32_16x16x16_f16 v[56:59], a[96:97], a[8:9], 0      // 0000000068DC: D3CD0038 1A021160
	ds_write_b64 v22, v[148:149] offset:31232                  // 0000000068E4: D89A7A00 00009416
	v_mfma_f32_16x16x16_f16 v[56:59], a[98:99], a[10:11], v[56:59]// 0000000068EC: D3CD0038 1CE21562
	v_mul_f32_e32 v152, s47, v152                              // 0000000068F4: 0B31302F
	v_mul_f32_e32 v153, s47, v153                              // 0000000068F8: 0B33322F
	v_mfma_f32_16x16x16_f16 v[56:59], a[100:101], a[12:13], v[56:59]// 0000000068FC: D3CD0038 1CE21964
	ds_write_b64 v22, v[150:151] offset:31744                  // 000000006904: D89A7C00 00009616
	v_mfma_f32_16x16x16_f16 v[56:59], a[102:103], a[14:15], v[56:59]// 00000000690C: D3CD0038 1CE21D66
	v_mul_f32_e32 v154, s47, v154                              // 000000006914: 0B35342F
	v_mul_f32_e32 v155, s47, v155                              // 000000006918: 0B37362F
	v_mfma_f32_16x16x16_f16 v[60:63], a[96:97], a[16:17], 0    // 00000000691C: D3CD003C 1A022160
	ds_write_b64 v22, v[152:153] offset:32256                  // 000000006924: D89A7E00 00009816
	v_mfma_f32_16x16x16_f16 v[60:63], a[98:99], a[18:19], v[60:63]// 00000000692C: D3CD003C 1CF22562
	buffer_atomic_add_f32 v160, v8, s[32:35], 0 idxen          // 000000006934: E1342000 8008A008
	v_mfma_f32_16x16x16_f16 v[60:63], a[100:101], a[20:21], v[60:63]// 00000000693C: D3CD003C 1CF22964
	ds_write_b64 v22, v[154:155] offset:32768                  // 000000006944: D89A8000 00009A16
	v_mfma_f32_16x16x16_f16 v[60:63], a[102:103], a[22:23], v[60:63]// 00000000694C: D3CD003C 1CF22D66
	v_mfma_f32_16x16x16_f16 v[64:67], a[104:105], a[0:1], 0    // 000000006954: D3CD0040 1A020168
	ds_read_b128 v[124:127], v14 offset:13056                  // 00000000695C: D9FE3300 7C00000E
	ds_write_b32 v13, v36                                      // 000000006964: D81A0000 0000240D
	v_mfma_f32_16x16x16_f16 v[64:67], a[106:107], a[2:3], v[64:67]// 00000000696C: D3CD0040 1D02056A
	buffer_atomic_add_f32 v161, v9, s[32:35], 0 idxen          // 000000006974: E1342000 8008A109
	v_mfma_f32_16x16x16_f16 v[64:67], a[108:109], a[4:5], v[64:67]// 00000000697C: D3CD0040 1D02096C
	v_mfma_f32_16x16x16_f16 v[64:67], a[110:111], a[6:7], v[64:67]// 000000006984: D3CD0040 1D020D6E
	ds_read_b128 v[128:131], v14 offset:13568                  // 00000000698C: D9FE3500 8000000E
	ds_write_b32 v13, v37 offset:1056                          // 000000006994: D81A0420 0000250D
	v_mfma_f32_16x16x16_f16 v[68:71], a[104:105], a[8:9], 0    // 00000000699C: D3CD0044 1A021168
	buffer_atomic_add_f32 v162, v8, s[32:35], 0 idxen offset:128// 0000000069A4: E1342080 8008A208
	v_mfma_f32_16x16x16_f16 v[68:71], a[106:107], a[10:11], v[68:71]// 0000000069AC: D3CD0044 1D12156A
	v_mfma_f32_16x16x16_f16 v[68:71], a[108:109], a[12:13], v[68:71]// 0000000069B4: D3CD0044 1D12196C
	ds_read_b128 v[132:135], v14 offset:15232                  // 0000000069BC: D9FE3B80 8400000E
	ds_write_b32 v13, v38 offset:2176                          // 0000000069C4: D81A0880 0000260D
	v_mfma_f32_16x16x16_f16 v[68:71], a[110:111], a[14:15], v[68:71]// 0000000069CC: D3CD0044 1D121D6E
	v_mfma_f32_16x16x16_f16 v[72:75], a[104:105], a[16:17], 0  // 0000000069D4: D3CD0048 1A022168
	buffer_atomic_add_f32 v163, v9, s[32:35], 0 idxen offset:128// 0000000069DC: E1342080 8008A309
	v_mfma_f32_16x16x16_f16 v[72:75], a[106:107], a[18:19], v[72:75]// 0000000069E4: D3CD0048 1D22256A
	ds_read_b128 v[136:139], v14 offset:15744                  // 0000000069EC: D9FE3D80 8800000E
	ds_write_b32 v13, v39 offset:3232                          // 0000000069F4: D81A0CA0 0000270D
	v_mfma_f32_16x16x16_f16 v[72:75], a[108:109], a[20:21], v[72:75]// 0000000069FC: D3CD0048 1D22296C
	v_mfma_f32_16x16x16_f16 v[72:75], a[110:111], a[22:23], v[72:75]// 000000006A04: D3CD0048 1D222D6E
	s_cmp_eq_i32 s92, 0                                        // 000000006A0C: BF00805C
	s_cbranch_scc1 label_0B87                                  // 000000006A10: BF8500F0
	s_cmp_lt_i32 s74, 6                                        // 000000006A14: BF04864A
	s_cbranch_scc0 label_0B0E                                  // 000000006A18: BF84007E
	s_lshl_b32 s60, s74, 5                                     // 000000006A1C: 8E3C854A
	s_lshl_b32 s61, 0, 4                                       // 000000006A20: 8E3D8480
	s_add_i32 s60, s60, s61                                    // 000000006A24: 813C3D3C
	v_sub_i32 v32, v232, s60                                   // 000000006A28: D29D0020 000079E8
	s_mov_b32 s61, 0                                           // 000000006A30: BEBD0080
	v_add_i32 v33, v32, s61                                    // 000000006A34: D29C0021 00007B20
	v_cmp_gt_i32_e64 s[88:89], v33, 0                          // 000000006A3C: D0C40058 00010121
	v_cmp_gt_i32_e64 s[90:91], v33, 1                          // 000000006A44: D0C4005A 00010321
	v_cndmask_b32_e64 v52, v52, v178, s[88:89]                 // 000000006A4C: D1000034 01636534
	v_cndmask_b32_e64 v53, v53, v178, s[90:91]                 // 000000006A54: D1000035 016B6535
	v_cmp_gt_i32_e64 s[88:89], v33, 2                          // 000000006A5C: D0C40058 00010521
	v_cmp_gt_i32_e64 s[90:91], v33, 3                          // 000000006A64: D0C4005A 00010721
	v_cndmask_b32_e64 v54, v54, v178, s[88:89]                 // 000000006A6C: D1000036 01636536
	v_cndmask_b32_e64 v55, v55, v178, s[90:91]                 // 000000006A74: D1000037 016B6537
	s_mov_b32 s61, 64                                          // 000000006A7C: BEBD00C0
	v_add_i32 v33, v32, s61                                    // 000000006A80: D29C0021 00007B20
	v_cmp_gt_i32_e64 s[88:89], v33, 0                          // 000000006A88: D0C40058 00010121
	v_cmp_gt_i32_e64 s[90:91], v33, 1                          // 000000006A90: D0C4005A 00010321
	v_cndmask_b32_e64 v56, v56, v178, s[88:89]                 // 000000006A98: D1000038 01636538
	v_cndmask_b32_e64 v57, v57, v178, s[90:91]                 // 000000006AA0: D1000039 016B6539
	v_cmp_gt_i32_e64 s[88:89], v33, 2                          // 000000006AA8: D0C40058 00010521
	v_cmp_gt_i32_e64 s[90:91], v33, 3                          // 000000006AB0: D0C4005A 00010721
	v_cndmask_b32_e64 v58, v58, v178, s[88:89]                 // 000000006AB8: D100003A 0163653A
	v_cndmask_b32_e64 v59, v59, v178, s[90:91]                 // 000000006AC0: D100003B 016B653B
	s_mov_b32 s61, 0x80                                        // 000000006AC8: BEBD00FF 00000080
	v_add_i32 v33, v32, s61                                    // 000000006AD0: D29C0021 00007B20
	v_cmp_gt_i32_e64 s[88:89], v33, 0                          // 000000006AD8: D0C40058 00010121
	v_cmp_gt_i32_e64 s[90:91], v33, 1                          // 000000006AE0: D0C4005A 00010321
	v_cndmask_b32_e64 v60, v60, v178, s[88:89]                 // 000000006AE8: D100003C 0163653C
	v_cndmask_b32_e64 v61, v61, v178, s[90:91]                 // 000000006AF0: D100003D 016B653D
	v_cmp_gt_i32_e64 s[88:89], v33, 2                          // 000000006AF8: D0C40058 00010521
	v_cmp_gt_i32_e64 s[90:91], v33, 3                          // 000000006B00: D0C4005A 00010721
	v_cndmask_b32_e64 v62, v62, v178, s[88:89]                 // 000000006B08: D100003E 0163653E
	v_cndmask_b32_e64 v63, v63, v178, s[90:91]                 // 000000006B10: D100003F 016B653F
	s_lshl_b32 s60, s74, 5                                     // 000000006B18: 8E3C854A
	s_lshl_b32 s61, 1, 4                                       // 000000006B1C: 8E3D8481
	s_add_i32 s60, s60, s61                                    // 000000006B20: 813C3D3C
	v_sub_i32 v32, v232, s60                                   // 000000006B24: D29D0020 000079E8
	s_mov_b32 s61, 0                                           // 000000006B2C: BEBD0080
	v_add_i32 v33, v32, s61                                    // 000000006B30: D29C0021 00007B20
	v_cmp_gt_i32_e64 s[88:89], v33, 0                          // 000000006B38: D0C40058 00010121
	v_cmp_gt_i32_e64 s[90:91], v33, 1                          // 000000006B40: D0C4005A 00010321
	v_cndmask_b32_e64 v64, v64, v178, s[88:89]                 // 000000006B48: D1000040 01636540
	v_cndmask_b32_e64 v65, v65, v178, s[90:91]                 // 000000006B50: D1000041 016B6541
	v_cmp_gt_i32_e64 s[88:89], v33, 2                          // 000000006B58: D0C40058 00010521
	v_cmp_gt_i32_e64 s[90:91], v33, 3                          // 000000006B60: D0C4005A 00010721
	v_cndmask_b32_e64 v66, v66, v178, s[88:89]                 // 000000006B68: D1000042 01636542
	v_cndmask_b32_e64 v67, v67, v178, s[90:91]                 // 000000006B70: D1000043 016B6543
	s_mov_b32 s61, 64                                          // 000000006B78: BEBD00C0
	v_add_i32 v33, v32, s61                                    // 000000006B7C: D29C0021 00007B20
	v_cmp_gt_i32_e64 s[88:89], v33, 0                          // 000000006B84: D0C40058 00010121
	v_cmp_gt_i32_e64 s[90:91], v33, 1                          // 000000006B8C: D0C4005A 00010321
	v_cndmask_b32_e64 v68, v68, v178, s[88:89]                 // 000000006B94: D1000044 01636544
	v_cndmask_b32_e64 v69, v69, v178, s[90:91]                 // 000000006B9C: D1000045 016B6545
	v_cmp_gt_i32_e64 s[88:89], v33, 2                          // 000000006BA4: D0C40058 00010521
	v_cmp_gt_i32_e64 s[90:91], v33, 3                          // 000000006BAC: D0C4005A 00010721
	v_cndmask_b32_e64 v70, v70, v178, s[88:89]                 // 000000006BB4: D1000046 01636546
	v_cndmask_b32_e64 v71, v71, v178, s[90:91]                 // 000000006BBC: D1000047 016B6547
	s_mov_b32 s61, 0x80                                        // 000000006BC4: BEBD00FF 00000080
	v_add_i32 v33, v32, s61                                    // 000000006BCC: D29C0021 00007B20
	v_cmp_gt_i32_e64 s[88:89], v33, 0                          // 000000006BD4: D0C40058 00010121
	v_cmp_gt_i32_e64 s[90:91], v33, 1                          // 000000006BDC: D0C4005A 00010321
	v_cndmask_b32_e64 v72, v72, v178, s[88:89]                 // 000000006BE4: D1000048 01636548
	v_cndmask_b32_e64 v73, v73, v178, s[90:91]                 // 000000006BEC: D1000049 016B6549
	v_cmp_gt_i32_e64 s[88:89], v33, 2                          // 000000006BF4: D0C40058 00010521
	v_cmp_gt_i32_e64 s[90:91], v33, 3                          // 000000006BFC: D0C4005A 00010721
	v_cndmask_b32_e64 v74, v74, v178, s[88:89]                 // 000000006C04: D100004A 0163654A
	v_cndmask_b32_e64 v75, v75, v178, s[90:91]                 // 000000006C0C: D100004B 016B654B

0000000000006c14 <label_0B0E>:
	s_cmp_lt_i32 s101, 0xc0                                    // 000000006C14: BF04FF65 000000C0
	s_cbranch_scc0 label_0B87                                  // 000000006C1C: BF84006D
	s_cmp_le_i32 s101, 64                                      // 000000006C20: BF05C065
	s_cbranch_scc1 label_0B1A                                  // 000000006C24: BF850007
	s_cmp_le_i32 s101, 0x80                                    // 000000006C28: BF05FF65 00000080
	s_cbranch_scc1 label_0B3E                                  // 000000006C30: BF85001F
	s_cmp_lt_i32 s101, 0xc0                                    // 000000006C34: BF04FF65 000000C0
	s_cbranch_scc1 label_0B62                                  // 000000006C3C: BF850040
	s_branch label_0B87                                        // 000000006C40: BF820064

0000000000006c44 <label_0B1A>:
	s_mov_b32 s60, 0                                           // 000000006C44: BEBC0080
	v_and_b32_e32 v32, 15, v0                                  // 000000006C48: 2640008F
	v_add_u32_e64 v32, v32, s60                                // 000000006C4C: D1340020 00007920
	v_mul_i32_i24_e64 v33, s46, 16                             // 000000006C54: D1060021 0001202E
	v_add_u32_e32 v32, v32, v33                                // 000000006C5C: 68404320
	v_cmp_lt_u32_e64 s[60:61], v32, s101                       // 000000006C60: D0C9003C 0000CB20
	s_nop 1                                                    // 000000006C68: BF800001
	v_cndmask_b32_e64 v52, v178, v52, s[60:61]                 // 000000006C6C: D1000034 00F269B2
	v_cndmask_b32_e64 v64, v178, v64, s[60:61]                 // 000000006C74: D1000040 00F281B2
	v_cndmask_b32_e64 v53, v178, v53, s[60:61]                 // 000000006C7C: D1000035 00F26BB2
	v_cndmask_b32_e64 v65, v178, v65, s[60:61]                 // 000000006C84: D1000041 00F283B2
	v_cndmask_b32_e64 v54, v178, v54, s[60:61]                 // 000000006C8C: D1000036 00F26DB2
	v_cndmask_b32_e64 v66, v178, v66, s[60:61]                 // 000000006C94: D1000042 00F285B2
	v_cndmask_b32_e64 v55, v178, v55, s[60:61]                 // 000000006C9C: D1000037 00F26FB2
	v_cndmask_b32_e64 v67, v178, v67, s[60:61]                 // 000000006CA4: D1000043 00F287B2
	s_branch label_0B59                                        // 000000006CAC: BF82001B

0000000000006cb0 <label_0B3E>:
	s_mov_b32 s60, 64                                          // 000000006CB0: BEBC00C0
	v_and_b32_e32 v32, 15, v0                                  // 000000006CB4: 2640008F
	v_add_u32_e64 v32, v32, s60                                // 000000006CB8: D1340020 00007920
	v_mul_i32_i24_e64 v33, s46, 16                             // 000000006CC0: D1060021 0001202E
	v_add_u32_e32 v32, v32, v33                                // 000000006CC8: 68404320
	v_cmp_lt_u32_e64 s[60:61], v32, s101                       // 000000006CCC: D0C9003C 0000CB20
	s_nop 1                                                    // 000000006CD4: BF800001
	v_cndmask_b32_e64 v56, v178, v56, s[60:61]                 // 000000006CD8: D1000038 00F271B2
	v_cndmask_b32_e64 v68, v178, v68, s[60:61]                 // 000000006CE0: D1000044 00F289B2
	v_cndmask_b32_e64 v57, v178, v57, s[60:61]                 // 000000006CE8: D1000039 00F273B2
	v_cndmask_b32_e64 v69, v178, v69, s[60:61]                 // 000000006CF0: D1000045 00F28BB2
	v_cndmask_b32_e64 v58, v178, v58, s[60:61]                 // 000000006CF8: D100003A 00F275B2
	v_cndmask_b32_e64 v70, v178, v70, s[60:61]                 // 000000006D00: D1000046 00F28DB2
	v_cndmask_b32_e64 v59, v178, v59, s[60:61]                 // 000000006D08: D100003B 00F277B2
	v_cndmask_b32_e64 v71, v178, v71, s[60:61]                 // 000000006D10: D1000047 00F28FB2
	s_branch label_0B7E                                        // 000000006D18: BF820025

0000000000006d1c <label_0B59>:
	v_mov_b32_e32 v56, v178                                    // 000000006D1C: 7E7003B2
	v_mov_b32_e32 v68, v178                                    // 000000006D20: 7E8803B2
	v_mov_b32_e32 v57, v178                                    // 000000006D24: 7E7203B2
	v_mov_b32_e32 v69, v178                                    // 000000006D28: 7E8A03B2
	v_mov_b32_e32 v58, v178                                    // 000000006D2C: 7E7403B2
	v_mov_b32_e32 v70, v178                                    // 000000006D30: 7E8C03B2
	v_mov_b32_e32 v59, v178                                    // 000000006D34: 7E7603B2
	v_mov_b32_e32 v71, v178                                    // 000000006D38: 7E8E03B2
	s_branch label_0B7E                                        // 000000006D3C: BF82001C

0000000000006d40 <label_0B62>:
	s_mov_b32 s60, 0x80                                        // 000000006D40: BEBC00FF 00000080
	v_and_b32_e32 v32, 15, v0                                  // 000000006D48: 2640008F
	v_add_u32_e64 v32, v32, s60                                // 000000006D4C: D1340020 00007920
	v_mul_i32_i24_e64 v33, s46, 16                             // 000000006D54: D1060021 0001202E
	v_add_u32_e32 v32, v32, v33                                // 000000006D5C: 68404320
	v_cmp_lt_u32_e64 s[60:61], v32, s101                       // 000000006D60: D0C9003C 0000CB20
	s_nop 1                                                    // 000000006D68: BF800001
	v_cndmask_b32_e64 v60, v178, v60, s[60:61]                 // 000000006D6C: D100003C 00F279B2
	v_cndmask_b32_e64 v72, v178, v72, s[60:61]                 // 000000006D74: D1000048 00F291B2
	v_cndmask_b32_e64 v61, v178, v61, s[60:61]                 // 000000006D7C: D100003D 00F27BB2
	v_cndmask_b32_e64 v73, v178, v73, s[60:61]                 // 000000006D84: D1000049 00F293B2
	v_cndmask_b32_e64 v62, v178, v62, s[60:61]                 // 000000006D8C: D100003E 00F27DB2
	v_cndmask_b32_e64 v74, v178, v74, s[60:61]                 // 000000006D94: D100004A 00F295B2
	v_cndmask_b32_e64 v63, v178, v63, s[60:61]                 // 000000006D9C: D100003F 00F27FB2
	v_cndmask_b32_e64 v75, v178, v75, s[60:61]                 // 000000006DA4: D100004B 00F297B2
	s_branch label_0B87                                        // 000000006DAC: BF820009

0000000000006db0 <label_0B7E>:
	v_mov_b32_e32 v60, v178                                    // 000000006DB0: 7E7803B2
	v_mov_b32_e32 v72, v178                                    // 000000006DB4: 7E9003B2
	v_mov_b32_e32 v61, v178                                    // 000000006DB8: 7E7A03B2
	v_mov_b32_e32 v73, v178                                    // 000000006DBC: 7E9203B2
	v_mov_b32_e32 v62, v178                                    // 000000006DC0: 7E7C03B2
	v_mov_b32_e32 v74, v178                                    // 000000006DC4: 7E9403B2
	v_mov_b32_e32 v63, v178                                    // 000000006DC8: 7E7E03B2
	v_mov_b32_e32 v75, v178                                    // 000000006DCC: 7E9603B2
	s_branch label_0B87                                        // 000000006DD0: BF820000

0000000000006dd4 <label_0B87>:
	s_addk_i32 s74, 0x1                                        // 000000006DD4: B74A0001
	s_waitcnt lgkmcnt(8)                                       // 000000006DD8: BF8CC87F
	s_barrier                                                  // 000000006DDC: BF8A0000
	v_mfma_f32_16x16x16_f16 v[76:79], v[108:109], a[72:73], 0  // 000000006DE0: D3CD004C 1202916C
	ds_read_b128 a[96:99], v14 offset:4352                     // 000000006DE8: DBFE1100 6000000E
	ds_read_b128 a[100:103], v14 offset:4864                   // 000000006DF0: DBFE1300 6400000E
	v_mfma_f32_16x16x16_f16 v[76:79], v[110:111], a[74:75], v[76:79]// 000000006DF8: D3CD004C 1532956E
	v_fma_f32 v52, v52, s57, -v140                             // 000000006E00: D1CB0034 86307334
	v_fma_f32 v53, v53, s57, -v141                             // 000000006E08: D1CB0035 86347335
	v_fma_f32 v54, v54, s57, -v142                             // 000000006E10: D1CB0036 86387336
	v_fma_f32 v55, v55, s57, -v143                             // 000000006E18: D1CB0037 863C7337
	v_fma_f32 v56, v56, s57, -v140                             // 000000006E20: D1CB0038 86307338
	v_fma_f32 v57, v57, s57, -v141                             // 000000006E28: D1CB0039 86347339
	v_mfma_f32_16x16x16_f16 v[76:79], v[112:113], a[76:77], v[76:79]// 000000006E30: D3CD004C 15329970
	v_fma_f32 v58, v58, s57, -v142                             // 000000006E38: D1CB003A 8638733A
	v_fma_f32 v59, v59, s57, -v143                             // 000000006E40: D1CB003B 863C733B
	v_fma_f32 v60, v60, s57, -v140                             // 000000006E48: D1CB003C 8630733C
	v_fma_f32 v61, v61, s57, -v141                             // 000000006E50: D1CB003D 8634733D
	v_fma_f32 v62, v62, s57, -v142                             // 000000006E58: D1CB003E 8638733E
	v_fma_f32 v63, v63, s57, -v143                             // 000000006E60: D1CB003F 863C733F
	v_mfma_f32_16x16x16_f16 v[76:79], v[114:115], a[78:79], v[76:79]// 000000006E68: D3CD004C 15329D72
	v_fma_f32 v64, v64, s57, -v144                             // 000000006E70: D1CB0040 86407340
	v_fma_f32 v65, v65, s57, -v145                             // 000000006E78: D1CB0041 86447341
	v_fma_f32 v66, v66, s57, -v146                             // 000000006E80: D1CB0042 86487342
	v_fma_f32 v67, v67, s57, -v147                             // 000000006E88: D1CB0043 864C7343
	v_fma_f32 v68, v68, s57, -v144                             // 000000006E90: D1CB0044 86407344
	v_fma_f32 v69, v69, s57, -v145                             // 000000006E98: D1CB0045 86447345
	v_mfma_f32_16x16x16_f16 v[80:83], v[108:109], a[80:81], 0  // 000000006EA0: D3CD0050 1202A16C
	ds_read_b128 a[104:107], v14 offset:6528                   // 000000006EA8: DBFE1980 6800000E
	ds_read_b128 a[108:111], v14 offset:7040                   // 000000006EB0: DBFE1B80 6C00000E
	v_mfma_f32_16x16x16_f16 v[80:83], v[110:111], a[82:83], v[80:83]// 000000006EB8: D3CD0050 1542A56E
	v_fma_f32 v70, v70, s57, -v146                             // 000000006EC0: D1CB0046 86487346
	v_fma_f32 v71, v71, s57, -v147                             // 000000006EC8: D1CB0047 864C7347
	v_fma_f32 v72, v72, s57, -v144                             // 000000006ED0: D1CB0048 86407348
	v_fma_f32 v73, v73, s57, -v145                             // 000000006ED8: D1CB0049 86447349
	v_fma_f32 v74, v74, s57, -v146                             // 000000006EE0: D1CB004A 8648734A
	v_fma_f32 v75, v75, s57, -v147                             // 000000006EE8: D1CB004B 864C734B
	v_mfma_f32_16x16x16_f16 v[80:83], v[112:113], a[84:85], v[80:83]// 000000006EF0: D3CD0050 1542A970
	v_exp_f32_e32 v52, v52                                     // 000000006EF8: 7E684134
	v_exp_f32_e32 v53, v53                                     // 000000006EFC: 7E6A4135
	v_mfma_f32_16x16x16_f16 v[80:83], v[114:115], a[86:87], v[80:83]// 000000006F00: D3CD0050 1542AD72
	v_exp_f32_e32 v54, v54                                     // 000000006F08: 7E6C4136
	v_exp_f32_e32 v55, v55                                     // 000000006F0C: 7E6E4137
	v_mfma_f32_16x16x16_f16 v[84:87], v[108:109], a[88:89], 0  // 000000006F10: D3CD0054 1202B16C
	ds_read_b64 v[156:157], v21 offset:31232                   // 000000006F18: D8EC7A00 9C000015
	ds_read_b64 v[158:159], v21 offset:33280                   // 000000006F20: D8EC8200 9E000015
	v_mfma_f32_16x16x16_f16 v[84:87], v[110:111], a[90:91], v[84:87]// 000000006F28: D3CD0054 1552B56E
	v_exp_f32_e32 v56, v56                                     // 000000006F30: 7E704138
	v_exp_f32_e32 v57, v57                                     // 000000006F34: 7E724139
	v_mfma_f32_16x16x16_f16 v[84:87], v[112:113], a[92:93], v[84:87]// 000000006F38: D3CD0054 1552B970
	ds_read_b64 v[160:161], v21 offset:35328                   // 000000006F40: D8EC8A00 A0000015
	ds_read_b64 v[162:163], v21 offset:37376                   // 000000006F48: D8EC9200 A2000015
	v_mfma_f32_16x16x16_f16 v[84:87], v[114:115], a[94:95], v[84:87]// 000000006F50: D3CD0054 1552BD72
	v_exp_f32_e32 v58, v58                                     // 000000006F58: 7E74413A
	v_exp_f32_e32 v59, v59                                     // 000000006F5C: 7E76413B
	v_mfma_f32_16x16x16_f16 v[88:91], v[116:117], a[72:73], 0  // 000000006F60: D3CD0058 12029174
	v_exp_f32_e32 v60, v60                                     // 000000006F68: 7E78413C
	v_exp_f32_e32 v61, v61                                     // 000000006F6C: 7E7A413D
	v_mfma_f32_16x16x16_f16 v[88:91], v[118:119], a[74:75], v[88:91]// 000000006F70: D3CD0058 15629576
	v_exp_f32_e32 v62, v62                                     // 000000006F78: 7E7C413E
	v_exp_f32_e32 v63, v63                                     // 000000006F7C: 7E7E413F
	v_mfma_f32_16x16x16_f16 v[88:91], v[120:121], a[76:77], v[88:91]// 000000006F80: D3CD0058 15629978
	v_exp_f32_e32 v64, v64                                     // 000000006F88: 7E804140
	v_exp_f32_e32 v65, v65                                     // 000000006F8C: 7E824141
	v_mfma_f32_16x16x16_f16 v[88:91], v[122:123], a[78:79], v[88:91]// 000000006F90: D3CD0058 15629D7A
	v_exp_f32_e32 v66, v66                                     // 000000006F98: 7E844142
	v_exp_f32_e32 v67, v67                                     // 000000006F9C: 7E864143
	v_mfma_f32_16x16x16_f16 v[92:95], v[116:117], a[80:81], 0  // 000000006FA0: D3CD005C 1202A174
	v_exp_f32_e32 v68, v68                                     // 000000006FA8: 7E884144
	v_exp_f32_e32 v69, v69                                     // 000000006FAC: 7E8A4145
	v_mfma_f32_16x16x16_f16 v[92:95], v[118:119], a[82:83], v[92:95]// 000000006FB0: D3CD005C 1572A576
	v_exp_f32_e32 v70, v70                                     // 000000006FB8: 7E8C4146
	v_exp_f32_e32 v71, v71                                     // 000000006FBC: 7E8E4147
	v_mfma_f32_16x16x16_f16 v[92:95], v[120:121], a[84:85], v[92:95]// 000000006FC0: D3CD005C 1572A978
	v_exp_f32_e32 v72, v72                                     // 000000006FC8: 7E904148
	v_exp_f32_e32 v73, v73                                     // 000000006FCC: 7E924149
	v_mfma_f32_16x16x16_f16 v[92:95], v[122:123], a[86:87], v[92:95]// 000000006FD0: D3CD005C 1572AD7A
	v_exp_f32_e32 v74, v74                                     // 000000006FD8: 7E94414A
	v_exp_f32_e32 v75, v75                                     // 000000006FDC: 7E96414B
	v_mfma_f32_16x16x16_f16 v[96:99], v[116:117], a[88:89], 0  // 000000006FE0: D3CD0060 1202B174
	v_cvt_pkrtz_f16_f32 v164, v52, v53                         // 000000006FE8: D29600A4 00026B34
	v_cvt_pkrtz_f16_f32 v165, v54, v55                         // 000000006FF0: D29600A5 00026F36
	v_cvt_pkrtz_f16_f32 v166, v56, v57                         // 000000006FF8: D29600A6 00027338
	v_cvt_pkrtz_f16_f32 v167, v58, v59                         // 000000007000: D29600A7 0002773A
	v_cvt_pkrtz_f16_f32 v168, v60, v61                         // 000000007008: D29600A8 00027B3C
	v_cvt_pkrtz_f16_f32 v169, v62, v63                         // 000000007010: D29600A9 00027F3E
	v_mfma_f32_16x16x16_f16 v[96:99], v[118:119], a[90:91], v[96:99]// 000000007018: D3CD0060 1582B576
	v_cvt_pkrtz_f16_f32 v170, v64, v65                         // 000000007020: D29600AA 00028340
	v_cvt_pkrtz_f16_f32 v171, v66, v67                         // 000000007028: D29600AB 00028742
	v_cvt_pkrtz_f16_f32 v172, v68, v69                         // 000000007030: D29600AC 00028B44
	v_cvt_pkrtz_f16_f32 v173, v70, v71                         // 000000007038: D29600AD 00028F46
	v_cvt_pkrtz_f16_f32 v174, v72, v73                         // 000000007040: D29600AE 00029348
	v_cvt_pkrtz_f16_f32 v175, v74, v75                         // 000000007048: D29600AF 0002974A
	v_mfma_f32_16x16x16_f16 v[96:99], v[120:121], a[92:93], v[96:99]// 000000007050: D3CD0060 1582B978
	v_add_u32_e32 v6, s66, v6                                  // 000000007058: 680C0C42
	v_add_u32_e32 v7, s66, v7                                  // 00000000705C: 680E0E42
	v_add_u32_e32 v8, s66, v8                                  // 000000007060: 68101042
	v_add_u32_e32 v9, s66, v9                                  // 000000007064: 68121242
	v_mfma_f32_16x16x16_f16 v[96:99], v[122:123], a[94:95], v[96:99]// 000000007068: D3CD0060 1582BD7A
	s_waitcnt lgkmcnt(0)                                       // 000000007070: BF8CC07F
	s_barrier                                                  // 000000007074: BF8A0000
	v_mfma_f32_16x16x16_f16 v[180:183], v[124:125], v[164:165], v[180:183]// 000000007078: D3CD00B4 06D3497C
	v_subrev_f32_dpp v76, v176, v76 quad_perm:[0,0,0,0] row_mask:0xf bank_mask:0xf// 000000007080: 069898FA FF0000B0
	v_subrev_f32_dpp v77, v176, v77 quad_perm:[1,1,1,1] row_mask:0xf bank_mask:0xf// 000000007088: 069A9AFA FF0055B0
	v_subrev_f32_dpp v78, v176, v78 quad_perm:[2,2,2,2] row_mask:0xf bank_mask:0xf// 000000007090: 069C9CFA FF00AAB0
	v_subrev_f32_dpp v79, v176, v79 quad_perm:[3,3,3,3] row_mask:0xf bank_mask:0xf// 000000007098: 069E9EFA FF00FFB0
	v_subrev_f32_dpp v80, v176, v80 quad_perm:[0,0,0,0] row_mask:0xf bank_mask:0xf// 0000000070A0: 06A0A0FA FF0000B0
	v_subrev_f32_dpp v81, v176, v81 quad_perm:[1,1,1,1] row_mask:0xf bank_mask:0xf// 0000000070A8: 06A2A2FA FF0055B0
	v_mfma_f32_16x16x16_f16 v[184:187], v[126:127], v[164:165], v[184:187]// 0000000070B0: D3CD00B8 06E3497E
	v_subrev_f32_dpp v82, v176, v82 quad_perm:[2,2,2,2] row_mask:0xf bank_mask:0xf// 0000000070B8: 06A4A4FA FF00AAB0
	v_subrev_f32_dpp v83, v176, v83 quad_perm:[3,3,3,3] row_mask:0xf bank_mask:0xf// 0000000070C0: 06A6A6FA FF00FFB0
	v_subrev_f32_dpp v84, v176, v84 quad_perm:[0,0,0,0] row_mask:0xf bank_mask:0xf// 0000000070C8: 06A8A8FA FF0000B0
	v_subrev_f32_dpp v85, v176, v85 quad_perm:[1,1,1,1] row_mask:0xf bank_mask:0xf// 0000000070D0: 06AAAAFA FF0055B0
	v_subrev_f32_dpp v86, v176, v86 quad_perm:[2,2,2,2] row_mask:0xf bank_mask:0xf// 0000000070D8: 06ACACFA FF00AAB0
	v_subrev_f32_dpp v87, v176, v87 quad_perm:[3,3,3,3] row_mask:0xf bank_mask:0xf// 0000000070E0: 06AEAEFA FF00FFB0
	v_mfma_f32_16x16x16_f16 v[188:191], v[128:129], v[164:165], v[188:191]// 0000000070E8: D3CD00BC 06F34980
	v_mul_f32_e32 v76, v52, v76                                // 0000000070F0: 0A989934
	v_mul_f32_e32 v77, v53, v77                                // 0000000070F4: 0A9A9B35
	v_mul_f32_e32 v78, v54, v78                                // 0000000070F8: 0A9C9D36
	v_mul_f32_e32 v79, v55, v79                                // 0000000070FC: 0A9E9F37
	v_mul_f32_e32 v80, v56, v80                                // 000000007100: 0AA0A138
	v_mul_f32_e32 v81, v57, v81                                // 000000007104: 0AA2A339
	v_mfma_f32_16x16x16_f16 v[192:195], v[130:131], v[164:165], v[192:195]// 000000007108: D3CD00C0 07034982
	v_mul_f32_e32 v82, v58, v82                                // 000000007110: 0AA4A53A
	v_mul_f32_e32 v83, v59, v83                                // 000000007114: 0AA6A73B
	v_mul_f32_e32 v84, v60, v84                                // 000000007118: 0AA8A93C
	v_mul_f32_e32 v85, v61, v85                                // 00000000711C: 0AAAAB3D
	v_mul_f32_e32 v86, v62, v86                                // 000000007120: 0AACAD3E
	v_mul_f32_e32 v87, v63, v87                                // 000000007124: 0AAEAF3F
	v_mfma_f32_16x16x16_f16 v[196:199], v[124:125], v[166:167], v[196:199]// 000000007128: D3CD00C4 07134D7C
	v_cvt_pkrtz_f16_f32 v76, v76, v77                          // 000000007130: D296004C 00029B4C
	v_cvt_pkrtz_f16_f32 v77, v78, v79                          // 000000007138: D296004D 00029F4E
	v_cvt_pkrtz_f16_f32 v78, v80, v81                          // 000000007140: D296004E 0002A350
	v_cvt_pkrtz_f16_f32 v79, v82, v83                          // 000000007148: D296004F 0002A752
	v_cvt_pkrtz_f16_f32 v80, v84, v85                          // 000000007150: D2960050 0002AB54
	v_cvt_pkrtz_f16_f32 v81, v86, v87                          // 000000007158: D2960051 0002AF56
	v_mfma_f32_16x16x16_f16 v[200:203], v[126:127], v[166:167], v[200:203]// 000000007160: D3CD00C8 07234D7E
	v_mov_b32_dpp v18, v76 quad_perm:[1,0,3,2] row_mask:0xf bank_mask:0xf// 000000007168: 7E2402FA FF00B14C
	v_perm_b32 v52, v18, v76, v17                              // 000000007170: D1ED0034 04469912
	v_mov_b32_dpp v18, v77 quad_perm:[1,0,3,2] row_mask:0xf bank_mask:0xf// 000000007178: 7E2402FA FF00B14D
	v_perm_b32 v53, v18, v77, v17                              // 000000007180: D1ED0035 04469B12
	v_mov_b32_dpp v18, v78 quad_perm:[1,0,3,2] row_mask:0xf bank_mask:0xf// 000000007188: 7E2402FA FF00B14E
	v_perm_b32 v54, v18, v78, v17                              // 000000007190: D1ED0036 04469D12
	v_mfma_f32_16x16x16_f16 v[204:207], v[128:129], v[166:167], v[204:207]// 000000007198: D3CD00CC 07334D80
	v_mov_b32_dpp v18, v79 quad_perm:[1,0,3,2] row_mask:0xf bank_mask:0xf// 0000000071A0: 7E2402FA FF00B14F
	v_perm_b32 v55, v18, v79, v17                              // 0000000071A8: D1ED0037 04469F12
	v_mov_b32_dpp v18, v80 quad_perm:[1,0,3,2] row_mask:0xf bank_mask:0xf// 0000000071B0: 7E2402FA FF00B150
	v_perm_b32 v56, v18, v80, v17                              // 0000000071B8: D1ED0038 0446A112
	v_mov_b32_dpp v18, v81 quad_perm:[1,0,3,2] row_mask:0xf bank_mask:0xf// 0000000071C0: 7E2402FA FF00B151
	v_perm_b32 v57, v18, v81, v17                              // 0000000071C8: D1ED0039 0446A312
	v_mfma_f32_16x16x16_f16 v[208:211], v[130:131], v[166:167], v[208:211]// 0000000071D0: D3CD00D0 07434D82
	ds_write_b32 v20, v52 offset:17408                         // 0000000071D8: D81A4400 00003414
	ds_write_b32 v20, v53 offset:17952                         // 0000000071E0: D81A4620 00003514
	v_mfma_f32_16x16x16_f16 v[212:215], v[124:125], v[168:169], v[212:215]// 0000000071E8: D3CD00D4 0753517C
	v_subrev_f32_dpp v88, v177, v88 quad_perm:[0,0,0,0] row_mask:0xf bank_mask:0xf// 0000000071F0: 06B0B0FA FF0000B1
	v_subrev_f32_dpp v89, v177, v89 quad_perm:[1,1,1,1] row_mask:0xf bank_mask:0xf// 0000000071F8: 06B2B2FA FF0055B1
	v_subrev_f32_dpp v90, v177, v90 quad_perm:[2,2,2,2] row_mask:0xf bank_mask:0xf// 000000007200: 06B4B4FA FF00AAB1
	v_subrev_f32_dpp v91, v177, v91 quad_perm:[3,3,3,3] row_mask:0xf bank_mask:0xf// 000000007208: 06B6B6FA FF00FFB1
	v_subrev_f32_dpp v92, v177, v92 quad_perm:[0,0,0,0] row_mask:0xf bank_mask:0xf// 000000007210: 06B8B8FA FF0000B1
	v_subrev_f32_dpp v93, v177, v93 quad_perm:[1,1,1,1] row_mask:0xf bank_mask:0xf// 000000007218: 06BABAFA FF0055B1
	v_mfma_f32_16x16x16_f16 v[216:219], v[126:127], v[168:169], v[216:219]// 000000007220: D3CD00D8 0763517E
	ds_write_b32 v20, v54 offset:19712                         // 000000007228: D81A4D00 00003614
	ds_write_b32 v20, v55 offset:20256                         // 000000007230: D81A4F20 00003714
	v_mfma_f32_16x16x16_f16 v[220:223], v[128:129], v[168:169], v[220:223]// 000000007238: D3CD00DC 07735180
	v_subrev_f32_dpp v94, v177, v94 quad_perm:[2,2,2,2] row_mask:0xf bank_mask:0xf// 000000007240: 06BCBCFA FF00AAB1
	v_subrev_f32_dpp v95, v177, v95 quad_perm:[3,3,3,3] row_mask:0xf bank_mask:0xf// 000000007248: 06BEBEFA FF00FFB1
	v_subrev_f32_dpp v96, v177, v96 quad_perm:[0,0,0,0] row_mask:0xf bank_mask:0xf// 000000007250: 06C0C0FA FF0000B1
	v_subrev_f32_dpp v97, v177, v97 quad_perm:[1,1,1,1] row_mask:0xf bank_mask:0xf// 000000007258: 06C2C2FA FF0055B1
	v_subrev_f32_dpp v98, v177, v98 quad_perm:[2,2,2,2] row_mask:0xf bank_mask:0xf// 000000007260: 06C4C4FA FF00AAB1
	v_subrev_f32_dpp v99, v177, v99 quad_perm:[3,3,3,3] row_mask:0xf bank_mask:0xf// 000000007268: 06C6C6FA FF00FFB1
	v_mfma_f32_16x16x16_f16 v[224:227], v[130:131], v[168:169], v[224:227]// 000000007270: D3CD00E0 07835182
	ds_write_b32 v20, v56 offset:22016                         // 000000007278: D81A5600 00003814
	ds_write_b32 v20, v57 offset:22560                         // 000000007280: D81A5820 00003914
	v_mfma_f32_16x16x16_f16 v[180:183], v[132:133], v[170:171], v[180:183]// 000000007288: D3CD00B4 06D35584
	v_mul_f32_e32 v88, v64, v88                                // 000000007290: 0AB0B140
	v_mul_f32_e32 v89, v65, v89                                // 000000007294: 0AB2B341
	v_mul_f32_e32 v90, v66, v90                                // 000000007298: 0AB4B542
	v_mul_f32_e32 v91, v67, v91                                // 00000000729C: 0AB6B743
	v_mul_f32_e32 v92, v68, v92                                // 0000000072A0: 0AB8B944
	v_mul_f32_e32 v93, v69, v93                                // 0000000072A4: 0ABABB45
	v_mfma_f32_16x16x16_f16 v[184:187], v[134:135], v[170:171], v[184:187]// 0000000072A8: D3CD00B8 06E35586
	v_mul_f32_e32 v94, v70, v94                                // 0000000072B0: 0ABCBD46
	v_mul_f32_e32 v95, v71, v95                                // 0000000072B4: 0ABEBF47
	v_mul_f32_e32 v96, v72, v96                                // 0000000072B8: 0AC0C148
	v_mul_f32_e32 v97, v73, v97                                // 0000000072BC: 0AC2C349
	v_mul_f32_e32 v98, v74, v98                                // 0000000072C0: 0AC4C54A
	v_mul_f32_e32 v99, v75, v99                                // 0000000072C4: 0AC6C74B
	v_mfma_f32_16x16x16_f16 v[188:191], v[136:137], v[170:171], v[188:191]// 0000000072C8: D3CD00BC 06F35588
	v_cvt_pkrtz_f16_f32 v82, v88, v89                          // 0000000072D0: D2960052 0002B358
	v_cvt_pkrtz_f16_f32 v83, v90, v91                          // 0000000072D8: D2960053 0002B75A
	v_cvt_pkrtz_f16_f32 v84, v92, v93                          // 0000000072E0: D2960054 0002BB5C
	v_cvt_pkrtz_f16_f32 v85, v94, v95                          // 0000000072E8: D2960055 0002BF5E
	v_cvt_pkrtz_f16_f32 v86, v96, v97                          // 0000000072F0: D2960056 0002C360
	v_cvt_pkrtz_f16_f32 v87, v98, v99                          // 0000000072F8: D2960057 0002C762
	v_mfma_f32_16x16x16_f16 v[192:195], v[138:139], v[170:171], v[192:195]// 000000007300: D3CD00C0 0703558A
	v_mov_b32_dpp v18, v82 quad_perm:[1,0,3,2] row_mask:0xf bank_mask:0xf// 000000007308: 7E2402FA FF00B152
	v_perm_b32 v58, v18, v82, v17                              // 000000007310: D1ED003A 0446A512
	v_mov_b32_dpp v18, v83 quad_perm:[1,0,3,2] row_mask:0xf bank_mask:0xf// 000000007318: 7E2402FA FF00B153
	v_perm_b32 v59, v18, v83, v17                              // 000000007320: D1ED003B 0446A712
	v_mov_b32_dpp v18, v84 quad_perm:[1,0,3,2] row_mask:0xf bank_mask:0xf// 000000007328: 7E2402FA FF00B154
	v_perm_b32 v60, v18, v84, v17                              // 000000007330: D1ED003C 0446A912
	v_mfma_f32_16x16x16_f16 v[196:199], v[132:133], v[172:173], v[196:199]// 000000007338: D3CD00C4 07135984
	v_mov_b32_dpp v18, v85 quad_perm:[1,0,3,2] row_mask:0xf bank_mask:0xf// 000000007340: 7E2402FA FF00B155
	v_perm_b32 v61, v18, v85, v17                              // 000000007348: D1ED003D 0446AB12
	v_mov_b32_dpp v18, v86 quad_perm:[1,0,3,2] row_mask:0xf bank_mask:0xf// 000000007350: 7E2402FA FF00B156
	v_perm_b32 v62, v18, v86, v17                              // 000000007358: D1ED003E 0446AD12
	v_mov_b32_dpp v18, v87 quad_perm:[1,0,3,2] row_mask:0xf bank_mask:0xf// 000000007360: 7E2402FA FF00B157
	v_perm_b32 v63, v18, v87, v17                              // 000000007368: D1ED003F 0446AF12
	v_mfma_f32_16x16x16_f16 v[200:203], v[134:135], v[172:173], v[200:203]// 000000007370: D3CD00C8 07235986
	ds_write_b32 v20, v58 offset:24320                         // 000000007378: D81A5F00 00003A14
	ds_write_b32 v20, v59 offset:24864                         // 000000007380: D81A6120 00003B14
	v_mfma_f32_16x16x16_f16 v[204:207], v[136:137], v[172:173], v[204:207]// 000000007388: D3CD00CC 07335988
	v_mfma_f32_16x16x16_f16 v[208:211], v[138:139], v[172:173], v[208:211]// 000000007390: D3CD00D0 0743598A
	ds_write_b32 v20, v60 offset:26624                         // 000000007398: D81A6800 00003C14
	ds_write_b32 v20, v61 offset:27168                         // 0000000073A0: D81A6A20 00003D14
	ds_write_b32 v20, v62 offset:28928                         // 0000000073A8: D81A7100 00003E14
	ds_write_b32 v20, v63 offset:29472                         // 0000000073B0: D81A7320 00003F14
	v_mfma_f32_16x16x16_f16 v[212:215], v[132:133], v[174:175], v[212:215]// 0000000073B8: D3CD00D4 07535D84
	v_mfma_f32_16x16x16_f16 v[216:219], v[134:135], v[174:175], v[216:219]// 0000000073C0: D3CD00D8 07635D86
	ds_write_b32 v15, v100 offset:4352                         // 0000000073C8: D81A1100 0000640F
	ds_write_b32 v15, v101 offset:5408                         // 0000000073D0: D81A1520 0000650F
	v_mfma_f32_16x16x16_f16 v[220:223], v[136:137], v[174:175], v[220:223]// 0000000073D8: D3CD00DC 07735D88
	s_nop 0                                                    // 0000000073E0: BF800000
	s_nop 0                                                    // 0000000073E4: BF800000
	s_nop 0                                                    // 0000000073E8: BF800000
	v_mfma_f32_16x16x16_f16 v[224:227], v[138:139], v[174:175], v[224:227]// 0000000073EC: D3CD00E0 07835D8A
	ds_write_b32 v15, v102 offset:6528                         // 0000000073F4: D81A1980 0000660F
	ds_write_b32 v15, v103 offset:7584                         // 0000000073FC: D81A1DA0 0000670F
	s_barrier                                                  // 000000007404: BF8A0000
	v_mfma_f32_16x16x16_f16 a[112:115], a[96:97], v[76:77], a[112:115]// 000000007408: D3CD8070 0DC29960
	buffer_atomic_add_f32 v156, v6, s[32:35], 0 idxen          // 000000007410: E1342000 80089C06
	v_mfma_f32_16x16x16_f16 a[116:119], a[98:99], v[76:77], a[116:119]// 000000007418: D3CD8074 0DD29962
	ds_read_b32 v140, v23 offset:39424                         // 000000007420: D86C9A00 8C000017
	ds_read_b32 v144, v23 offset:39488                         // 000000007428: D86C9A40 90000017
	ds_read_b32 v176, v23 offset:39680                         // 000000007430: D86C9B00 B0000017
	ds_read_b32 v177, v23 offset:39744                         // 000000007438: D86C9B40 B1000017
	v_mfma_f32_16x16x16_f16 a[120:123], a[100:101], v[76:77], a[120:123]// 000000007440: D3CD8078 0DE29964
	s_waitcnt lgkmcnt(8)                                       // 000000007448: BF8CC87F
	s_barrier                                                  // 00000000744C: BF8A0000
	v_mfma_f32_16x16x16_f16 a[124:127], a[102:103], v[76:77], a[124:127]// 000000007450: D3CD807C 0DF29966
	ds_read_b128 v[52:55], v19 offset:17408                    // 000000007458: D9FE4400 34000013
	v_mfma_f32_16x16x16_f16 a[128:131], a[96:97], v[78:79], a[128:131]// 000000007460: D3CD8080 0E029D60
	v_mfma_f32_16x16x16_f16 a[132:135], a[98:99], v[78:79], a[132:135]// 000000007468: D3CD8084 0E129D62
	ds_read_b128 v[56:59], v19 offset:18560                    // 000000007470: D9FE4880 38000013
	v_mfma_f32_16x16x16_f16 a[136:139], a[100:101], v[78:79], a[136:139]// 000000007478: D3CD8088 0E229D64
	buffer_atomic_add_f32 v157, v7, s[32:35], 0 idxen          // 000000007480: E1342000 80089D07
	v_mfma_f32_16x16x16_f16 a[140:143], a[102:103], v[78:79], a[140:143]// 000000007488: D3CD808C 0E329D66
	ds_read_b128 v[60:63], v19 offset:19712                    // 000000007490: D9FE4D00 3C000013
	v_mfma_f32_16x16x16_f16 a[144:147], a[96:97], v[80:81], a[144:147]// 000000007498: D3CD8090 0E42A160
	v_mfma_f32_16x16x16_f16 a[148:151], a[98:99], v[80:81], a[148:151]// 0000000074A0: D3CD8094 0E52A162
	ds_read_b128 v[64:67], v19 offset:20864                    // 0000000074A8: D9FE5180 40000013
	v_mfma_f32_16x16x16_f16 a[152:155], a[100:101], v[80:81], a[152:155]// 0000000074B0: D3CD8098 0E62A164
	v_mfma_f32_16x16x16_f16 a[156:159], a[102:103], v[80:81], a[156:159]// 0000000074B8: D3CD809C 0E72A166
	ds_read_b128 v[68:71], v19 offset:22016                    // 0000000074C0: D9FE5600 44000013
	v_mfma_f32_16x16x16_f16 a[112:115], a[104:105], v[82:83], a[112:115]// 0000000074C8: D3CD8070 0DC2A568
	buffer_atomic_add_f32 v158, v6, s[32:35], 0 idxen offset:128// 0000000074D0: E1342080 80089E06
	v_mfma_f32_16x16x16_f16 a[116:119], a[106:107], v[82:83], a[116:119]// 0000000074D8: D3CD8074 0DD2A56A
	ds_read_b128 v[72:75], v19 offset:23168                    // 0000000074E0: D9FE5A80 48000013
	v_mfma_f32_16x16x16_f16 a[120:123], a[108:109], v[82:83], a[120:123]// 0000000074E8: D3CD8078 0DE2A56C
	v_mfma_f32_16x16x16_f16 a[124:127], a[110:111], v[82:83], a[124:127]// 0000000074F0: D3CD807C 0DF2A56E
	ds_write_b32 v15, v104 offset:13056                        // 0000000074F8: D81A3300 0000680F
	v_mfma_f32_16x16x16_f16 a[128:131], a[104:105], v[84:85], a[128:131]// 000000007500: D3CD8080 0E02A968
	v_mfma_f32_16x16x16_f16 a[132:135], a[106:107], v[84:85], a[132:135]// 000000007508: D3CD8084 0E12A96A
	ds_write_b32 v15, v105 offset:14112                        // 000000007510: D81A3720 0000690F
	v_mfma_f32_16x16x16_f16 a[136:139], a[108:109], v[84:85], a[136:139]// 000000007518: D3CD8088 0E22A96C
	buffer_atomic_add_f32 v159, v7, s[32:35], 0 idxen offset:128// 000000007520: E1342080 80089F07
	v_mfma_f32_16x16x16_f16 a[140:143], a[110:111], v[84:85], a[140:143]// 000000007528: D3CD808C 0E32A96E
	ds_write_b32 v15, v106 offset:15232                        // 000000007530: D81A3B80 00006A0F
	v_mfma_f32_16x16x16_f16 a[144:147], a[104:105], v[86:87], a[144:147]// 000000007538: D3CD8090 0E42AD68
	v_mfma_f32_16x16x16_f16 a[148:151], a[106:107], v[86:87], a[148:151]// 000000007540: D3CD8094 0E52AD6A
	ds_write_b32 v15, v107 offset:16288                        // 000000007548: D81A3FA0 00006B0F
	v_mfma_f32_16x16x16_f16 a[152:155], a[108:109], v[86:87], a[152:155]// 000000007550: D3CD8098 0E62AD6C
	v_mfma_f32_16x16x16_f16 a[156:159], a[110:111], v[86:87], a[156:159]// 000000007558: D3CD809C 0E72AD6E
	s_waitcnt vmcnt(8) lgkmcnt(4)                              // 000000007560: BF8C0478
	s_barrier                                                  // 000000007564: BF8A0000
	v_mfma_f32_16x16x16_f16 v[148:151], v[52:53], a[24:25], 0  // 000000007568: D3CD0094 12023134
	v_mul_f32_e32 v140, s48, v140                              // 000000007570: 0B191830
	v_mul_f32_e32 v144, s48, v144                              // 000000007574: 0B212030
	s_nop 0                                                    // 000000007578: BF800000
	v_mfma_f32_16x16x16_f16 v[148:151], v[54:55], a[28:29], v[148:151]// 00000000757C: D3CD0094 16523936
	ds_read_b128 a[96:99], v12                                 // 000000007584: DBFE0000 6000000C
	buffer_load_dword v36, v1, s[8:11], 0 idxen                // 00000000758C: E0502000 80022401
	v_mfma_f32_16x16x16_f16 v[148:151], v[56:57], a[32:33], v[148:151]// 000000007594: D3CD0094 16524138
	v_mfma_f32_16x16x16_f16 v[148:151], v[58:59], a[36:37], v[148:151]// 00000000759C: D3CD0094 1652493A
	ds_read_b128 a[100:103], v12 offset:512                    // 0000000075A4: DBFE0200 6400000C
	buffer_load_dword v37, v2, s[8:11], 0 idxen                // 0000000075AC: E0502000 80022502
	v_mfma_f32_16x16x16_f16 v[148:151], v[60:61], a[40:41], v[148:151]// 0000000075B4: D3CD0094 1652513C
	v_perm_b32 v100, v41, v40, s63                             // 0000000075BC: D1ED0064 00FE5129
	v_perm_b32 v101, v41, v40, s64                             // 0000000075C4: D1ED0065 01025129
	v_mfma_f32_16x16x16_f16 v[148:151], v[62:63], a[44:45], v[148:151]// 0000000075CC: D3CD0094 1652593E
	ds_read_b128 a[104:107], v12 offset:2176                   // 0000000075D4: DBFE0880 6800000C
	buffer_load_dword v38, v3, s[8:11], 0 idxen                // 0000000075DC: E0502000 80022603
	v_mfma_f32_16x16x16_f16 v[148:151], v[64:65], a[48:49], v[148:151]// 0000000075E4: D3CD0094 16526140
	v_perm_b32 v102, v43, v42, s63                             // 0000000075EC: D1ED0066 00FE552B
	v_perm_b32 v103, v43, v42, s64                             // 0000000075F4: D1ED0067 0102552B
	v_mfma_f32_16x16x16_f16 v[148:151], v[66:67], a[52:53], v[148:151]// 0000000075FC: D3CD0094 16526942
	ds_read_b128 a[108:111], v12 offset:2688                   // 000000007604: DBFE0A80 6C00000C
	buffer_load_dword v39, v4, s[8:11], 0 idxen                // 00000000760C: E0502000 80022704
	v_mfma_f32_16x16x16_f16 v[148:151], v[68:69], a[56:57], v[148:151]// 000000007614: D3CD0094 16527144
	v_perm_b32 v104, v49, v48, s63                             // 00000000761C: D1ED0068 00FE6131
	v_perm_b32 v105, v49, v48, s64                             // 000000007624: D1ED0069 01026131
	v_mfma_f32_16x16x16_f16 v[148:151], v[70:71], a[60:61], v[148:151]// 00000000762C: D3CD0094 16527946
	ds_read_b128 v[108:111], v12 offset:8704                   // 000000007634: D9FE2200 6C00000C
	buffer_load_dword v44, v228, s[20:23], 0 idxen             // 00000000763C: E0502000 80052CE4
	v_mfma_f32_16x16x16_f16 v[148:151], v[72:73], a[64:65], v[148:151]// 000000007644: D3CD0094 16528148
	v_perm_b32 v106, v51, v50, s63                             // 00000000764C: D1ED006A 00FE6533
	v_perm_b32 v107, v51, v50, s64                             // 000000007654: D1ED006B 01026533
	v_mfma_f32_16x16x16_f16 v[148:151], v[74:75], a[68:69], v[148:151]// 00000000765C: D3CD0094 1652894A
	ds_read_b128 v[112:115], v12 offset:9216                   // 000000007664: D9FE2400 7000000C
	buffer_load_dword v45, v229, s[20:23], 0 idxen             // 00000000766C: E0502000 80052DE5
	v_mfma_f32_16x16x16_f16 v[152:155], v[52:53], a[26:27], 0  // 000000007674: D3CD0098 12023534
	v_mov_b32_dpp v143, v140 quad_perm:[3,3,3,3] row_mask:0xf bank_mask:0xf// 00000000767C: 7F1E02FA FF00FF8C
	v_mov_b32_dpp v142, v140 quad_perm:[2,2,2,2] row_mask:0xf bank_mask:0xf// 000000007684: 7F1C02FA FF00AA8C
	v_mov_b32_dpp v141, v140 quad_perm:[1,1,1,1] row_mask:0xf bank_mask:0xf// 00000000768C: 7F1A02FA FF00558C
	v_mov_b32_dpp v140, v140 quad_perm:[0,0,0,0] row_mask:0xf bank_mask:0xf// 000000007694: 7F1802FA FF00008C
	v_mfma_f32_16x16x16_f16 v[152:155], v[54:55], a[30:31], v[152:155]// 00000000769C: D3CD0098 16623D36
	ds_read_b128 v[116:119], v12 offset:10880                  // 0000000076A4: D9FE2A80 7400000C
	buffer_load_dword v46, v230, s[20:23], 0 idxen             // 0000000076AC: E0502000 80052EE6
	v_mfma_f32_16x16x16_f16 v[152:155], v[56:57], a[34:35], v[152:155]// 0000000076B4: D3CD0098 16624538
	v_mov_b32_dpp v147, v144 quad_perm:[3,3,3,3] row_mask:0xf bank_mask:0xf// 0000000076BC: 7F2602FA FF00FF90
	v_mov_b32_dpp v146, v144 quad_perm:[2,2,2,2] row_mask:0xf bank_mask:0xf// 0000000076C4: 7F2402FA FF00AA90
	v_mov_b32_dpp v145, v144 quad_perm:[1,1,1,1] row_mask:0xf bank_mask:0xf// 0000000076CC: 7F2202FA FF005590
	v_mov_b32_dpp v144, v144 quad_perm:[0,0,0,0] row_mask:0xf bank_mask:0xf// 0000000076D4: 7F2002FA FF000090
	s_add_u32 s60, 0x80, s59                                   // 0000000076DC: 803C3BFF 00000080
	v_mfma_f32_16x16x16_f16 v[152:155], v[58:59], a[38:39], v[152:155]// 0000000076E4: D3CD0098 16624D3A
	ds_read_b128 v[120:123], v12 offset:11392                  // 0000000076EC: D9FE2C80 7800000C
	buffer_load_dword v47, v231, s[20:23], 0 idxen             // 0000000076F4: E0502000 80052FE7
	v_mfma_f32_16x16x16_f16 v[152:155], v[60:61], a[42:43], v[152:155]// 0000000076FC: D3CD0098 1662553C
	s_cmp_lt_u32 s60, s58                                      // 000000007704: BF0A3A3C
	s_cselect_b32 s68, s68, 0                                  // 000000007708: 85448044
	s_cselect_b32 s99, s99, 0                                  // 00000000770C: 85638063
	s_cselect_b32 s69, s69, 0                                  // 000000007710: 85458045
	v_mfma_f32_16x16x16_f16 v[152:155], v[62:63], a[46:47], v[152:155]// 000000007714: D3CD0098 16625D3E
	buffer_load_dword v11, s[24:27], 0 idxen lds               // 00000000771C: E0512000 8006000B
	v_mfma_f32_16x16x16_f16 v[152:155], v[64:65], a[50:51], v[152:155]// 000000007724: D3CD0098 16626540
	v_add_u32_e32 v1, s68, v1                                  // 00000000772C: 68020244
	v_add_u32_e32 v2, s68, v2                                  // 000000007730: 68040444
	v_add_u32_e32 v3, s68, v3                                  // 000000007734: 68060644
	;; [unrolled: 1-line block ×3, first 2 shown]
	v_mfma_f32_16x16x16_f16 v[152:155], v[66:67], a[54:55], v[152:155]// 00000000773C: D3CD0098 16626D42
	v_add_u32_e32 v228, s99, v228                              // 000000007744: 69C9C863
	v_add_u32_e32 v229, s99, v229                              // 000000007748: 69CBCA63
	v_add_u32_e32 v230, s99, v230                              // 00000000774C: 69CDCC63
	v_add_u32_e32 v231, s99, v231                              // 000000007750: 69CFCE63
	v_mfma_f32_16x16x16_f16 v[152:155], v[68:69], a[58:59], v[152:155]// 000000007754: D3CD0098 16627544
	s_mov_b32 m0, s79                                          // 00000000775C: BEFC004F
	v_add_u32_e32 v11, s69, v11                                // 000000007760: 68161645
	v_mfma_f32_16x16x16_f16 v[152:155], v[70:71], a[62:63], v[152:155]// 000000007764: D3CD0098 16627D46
	s_cmp_ge_u32 s59, s73                                      // 00000000776C: BF09493B
	s_cselect_b32 s66, s67, s66                                // 000000007770: 85424243
	v_mfma_f32_16x16x16_f16 v[152:155], v[72:73], a[66:67], v[152:155]// 000000007774: D3CD0098 16628548
	s_addk_i32 s59, 0x20                                       // 00000000777C: B73B0020
	s_nop 0                                                    // 000000007780: BF800000
	s_cmp_lt_i32 s59, s58                                      // 000000007784: BF043A3B
	v_mfma_f32_16x16x16_f16 v[152:155], v[74:75], a[70:71], v[152:155]// 000000007788: D3CD0098 16628D4A
	s_cbranch_scc0 label_0DF8                                  // 000000007790: BF840001
	s_branch label_065D                                        // 000000007794: BF82F877

0000000000007798 <label_0DF8>:
	s_nop 0                                                    // 000000007798: BF800000
	s_nop 0                                                    // 00000000779C: BF800000
	s_branch label_1596                                        // 0000000077A0: BF820789

00000000000077a4 <label_0DFB>:
	s_waitcnt lgkmcnt(0)                                       // 0000000077A4: BF8CC07F
	s_barrier                                                  // 0000000077A8: BF8A0000
	v_mfma_f32_16x16x16_f16 v[52:55], a[96:97], a[0:1], 0      // 0000000077AC: D3CD0034 1A020160
	v_mul_f32_e32 v148, s47, v148                              // 0000000077B4: 0B29282F
	v_mul_f32_e32 v149, s47, v149                              // 0000000077B8: 0B2B2A2F
	v_mfma_f32_16x16x16_f16 v[52:55], a[98:99], a[2:3], v[52:55]// 0000000077BC: D3CD0034 1CD20562
	ds_write_b32 v13, v48 offset:8704                          // 0000000077C4: D81A2200 0000300D
	ds_write_b32 v13, v49 offset:9760                          // 0000000077CC: D81A2620 0000310D
	v_mfma_f32_16x16x16_f16 v[52:55], a[100:101], a[4:5], v[52:55]// 0000000077D4: D3CD0034 1CD20964
	v_mul_f32_e32 v150, s47, v150                              // 0000000077DC: 0B2D2C2F
	v_mul_f32_e32 v151, s47, v151                              // 0000000077E0: 0B2F2E2F
	v_mfma_f32_16x16x16_f16 v[52:55], a[102:103], a[6:7], v[52:55]// 0000000077E4: D3CD0034 1CD20D66
	ds_write_b32 v13, v50 offset:10880                         // 0000000077EC: D81A2A80 0000320D
	ds_write_b32 v13, v51 offset:11936                         // 0000000077F4: D81A2EA0 0000330D
	v_mfma_f32_16x16x16_f16 v[56:59], a[96:97], a[8:9], 0      // 0000000077FC: D3CD0038 1A021160
	v_mul_f32_e32 v152, s47, v152                              // 000000007804: 0B31302F
	v_mul_f32_e32 v153, s47, v153                              // 000000007808: 0B33322F
	v_mfma_f32_16x16x16_f16 v[56:59], a[98:99], a[10:11], v[56:59]// 00000000780C: D3CD0038 1CE21562
	ds_write_b64 v22, v[148:149] offset:31232                  // 000000007814: D89A7A00 00009416
	v_mfma_f32_16x16x16_f16 v[56:59], a[100:101], a[12:13], v[56:59]// 00000000781C: D3CD0038 1CE21964
	v_mul_f32_e32 v154, s47, v154                              // 000000007824: 0B35342F
	v_mul_f32_e32 v155, s47, v155                              // 000000007828: 0B37362F
	v_mfma_f32_16x16x16_f16 v[56:59], a[102:103], a[14:15], v[56:59]// 00000000782C: D3CD0038 1CE21D66
	ds_write_b64 v22, v[150:151] offset:31744                  // 000000007834: D89A7C00 00009616
	v_mfma_f32_16x16x16_f16 v[60:63], a[96:97], a[16:17], 0    // 00000000783C: D3CD003C 1A022160
	buffer_atomic_add_f32 v160, v8, s[32:35], 0 idxen          // 000000007844: E1342000 8008A008
	v_mfma_f32_16x16x16_f16 v[60:63], a[98:99], a[18:19], v[60:63]// 00000000784C: D3CD003C 1CF22562
	ds_write_b64 v22, v[152:153] offset:32256                  // 000000007854: D89A7E00 00009816
	v_mfma_f32_16x16x16_f16 v[60:63], a[100:101], a[20:21], v[60:63]// 00000000785C: D3CD003C 1CF22964
	v_mfma_f32_16x16x16_f16 v[60:63], a[102:103], a[22:23], v[60:63]// 000000007864: D3CD003C 1CF22D66
	ds_write_b64 v22, v[154:155] offset:32768                  // 00000000786C: D89A8000 00009A16
	v_mfma_f32_16x16x16_f16 v[64:67], a[104:105], a[0:1], 0    // 000000007874: D3CD0040 1A020168
	buffer_atomic_add_f32 v161, v9, s[32:35], 0 idxen          // 00000000787C: E1342000 8008A109
	v_mfma_f32_16x16x16_f16 v[64:67], a[106:107], a[2:3], v[64:67]// 000000007884: D3CD0040 1D02056A
	ds_read_b128 v[124:127], v14 offset:13056                  // 00000000788C: D9FE3300 7C00000E
	ds_write_b32 v13, v40                                      // 000000007894: D81A0000 0000280D
	v_mfma_f32_16x16x16_f16 v[64:67], a[108:109], a[4:5], v[64:67]// 00000000789C: D3CD0040 1D02096C
	v_mfma_f32_16x16x16_f16 v[64:67], a[110:111], a[6:7], v[64:67]// 0000000078A4: D3CD0040 1D020D6E
	v_mfma_f32_16x16x16_f16 v[68:71], a[104:105], a[8:9], 0    // 0000000078AC: D3CD0044 1A021168
	ds_read_b128 v[128:131], v14 offset:13568                  // 0000000078B4: D9FE3500 8000000E
	ds_write_b32 v13, v41 offset:1056                          // 0000000078BC: D81A0420 0000290D
	v_mfma_f32_16x16x16_f16 v[68:71], a[106:107], a[10:11], v[68:71]// 0000000078C4: D3CD0044 1D12156A
	buffer_atomic_add_f32 v162, v8, s[32:35], 0 idxen offset:128// 0000000078CC: E1342080 8008A208
	v_mfma_f32_16x16x16_f16 v[68:71], a[108:109], a[12:13], v[68:71]// 0000000078D4: D3CD0044 1D12196C
	v_mfma_f32_16x16x16_f16 v[68:71], a[110:111], a[14:15], v[68:71]// 0000000078DC: D3CD0044 1D121D6E
	ds_read_b128 v[132:135], v14 offset:15232                  // 0000000078E4: D9FE3B80 8400000E
	ds_write_b32 v13, v42 offset:2176                          // 0000000078EC: D81A0880 00002A0D
	v_mfma_f32_16x16x16_f16 v[72:75], a[104:105], a[16:17], 0  // 0000000078F4: D3CD0048 1A022168
	v_mfma_f32_16x16x16_f16 v[72:75], a[106:107], a[18:19], v[72:75]// 0000000078FC: D3CD0048 1D22256A
	buffer_atomic_add_f32 v163, v9, s[32:35], 0 idxen offset:128// 000000007904: E1342080 8008A309
	v_mfma_f32_16x16x16_f16 v[72:75], a[108:109], a[20:21], v[72:75]// 00000000790C: D3CD0048 1D22296C
	ds_read_b128 v[136:139], v14 offset:15744                  // 000000007914: D9FE3D80 8800000E
	ds_write_b32 v13, v43 offset:3232                          // 00000000791C: D81A0CA0 00002B0D
	v_mfma_f32_16x16x16_f16 v[72:75], a[110:111], a[22:23], v[72:75]// 000000007924: D3CD0048 1D222D6E
	s_cmp_eq_i32 s92, 0                                        // 00000000792C: BF00805C
	s_cbranch_scc1 label_0F58                                  // 000000007930: BF8500F0
	s_cmp_lt_i32 s74, 6                                        // 000000007934: BF04864A
	s_cbranch_scc0 label_0EDF                                  // 000000007938: BF84007E
	s_lshl_b32 s60, s74, 5                                     // 00000000793C: 8E3C854A
	s_lshl_b32 s61, 0, 4                                       // 000000007940: 8E3D8480
	s_add_i32 s60, s60, s61                                    // 000000007944: 813C3D3C
	v_sub_i32 v32, v232, s60                                   // 000000007948: D29D0020 000079E8
	s_mov_b32 s61, 0                                           // 000000007950: BEBD0080
	v_add_i32 v33, v32, s61                                    // 000000007954: D29C0021 00007B20
	v_cmp_gt_i32_e64 s[88:89], v33, 0                          // 00000000795C: D0C40058 00010121
	v_cmp_gt_i32_e64 s[90:91], v33, 1                          // 000000007964: D0C4005A 00010321
	v_cndmask_b32_e64 v52, v52, v178, s[88:89]                 // 00000000796C: D1000034 01636534
	v_cndmask_b32_e64 v53, v53, v178, s[90:91]                 // 000000007974: D1000035 016B6535
	v_cmp_gt_i32_e64 s[88:89], v33, 2                          // 00000000797C: D0C40058 00010521
	v_cmp_gt_i32_e64 s[90:91], v33, 3                          // 000000007984: D0C4005A 00010721
	v_cndmask_b32_e64 v54, v54, v178, s[88:89]                 // 00000000798C: D1000036 01636536
	v_cndmask_b32_e64 v55, v55, v178, s[90:91]                 // 000000007994: D1000037 016B6537
	s_mov_b32 s61, 64                                          // 00000000799C: BEBD00C0
	v_add_i32 v33, v32, s61                                    // 0000000079A0: D29C0021 00007B20
	v_cmp_gt_i32_e64 s[88:89], v33, 0                          // 0000000079A8: D0C40058 00010121
	v_cmp_gt_i32_e64 s[90:91], v33, 1                          // 0000000079B0: D0C4005A 00010321
	v_cndmask_b32_e64 v56, v56, v178, s[88:89]                 // 0000000079B8: D1000038 01636538
	v_cndmask_b32_e64 v57, v57, v178, s[90:91]                 // 0000000079C0: D1000039 016B6539
	v_cmp_gt_i32_e64 s[88:89], v33, 2                          // 0000000079C8: D0C40058 00010521
	v_cmp_gt_i32_e64 s[90:91], v33, 3                          // 0000000079D0: D0C4005A 00010721
	v_cndmask_b32_e64 v58, v58, v178, s[88:89]                 // 0000000079D8: D100003A 0163653A
	v_cndmask_b32_e64 v59, v59, v178, s[90:91]                 // 0000000079E0: D100003B 016B653B
	s_mov_b32 s61, 0x80                                        // 0000000079E8: BEBD00FF 00000080
	v_add_i32 v33, v32, s61                                    // 0000000079F0: D29C0021 00007B20
	v_cmp_gt_i32_e64 s[88:89], v33, 0                          // 0000000079F8: D0C40058 00010121
	v_cmp_gt_i32_e64 s[90:91], v33, 1                          // 000000007A00: D0C4005A 00010321
	v_cndmask_b32_e64 v60, v60, v178, s[88:89]                 // 000000007A08: D100003C 0163653C
	v_cndmask_b32_e64 v61, v61, v178, s[90:91]                 // 000000007A10: D100003D 016B653D
	v_cmp_gt_i32_e64 s[88:89], v33, 2                          // 000000007A18: D0C40058 00010521
	v_cmp_gt_i32_e64 s[90:91], v33, 3                          // 000000007A20: D0C4005A 00010721
	v_cndmask_b32_e64 v62, v62, v178, s[88:89]                 // 000000007A28: D100003E 0163653E
	v_cndmask_b32_e64 v63, v63, v178, s[90:91]                 // 000000007A30: D100003F 016B653F
	s_lshl_b32 s60, s74, 5                                     // 000000007A38: 8E3C854A
	s_lshl_b32 s61, 1, 4                                       // 000000007A3C: 8E3D8481
	s_add_i32 s60, s60, s61                                    // 000000007A40: 813C3D3C
	v_sub_i32 v32, v232, s60                                   // 000000007A44: D29D0020 000079E8
	s_mov_b32 s61, 0                                           // 000000007A4C: BEBD0080
	v_add_i32 v33, v32, s61                                    // 000000007A50: D29C0021 00007B20
	v_cmp_gt_i32_e64 s[88:89], v33, 0                          // 000000007A58: D0C40058 00010121
	v_cmp_gt_i32_e64 s[90:91], v33, 1                          // 000000007A60: D0C4005A 00010321
	v_cndmask_b32_e64 v64, v64, v178, s[88:89]                 // 000000007A68: D1000040 01636540
	v_cndmask_b32_e64 v65, v65, v178, s[90:91]                 // 000000007A70: D1000041 016B6541
	v_cmp_gt_i32_e64 s[88:89], v33, 2                          // 000000007A78: D0C40058 00010521
	v_cmp_gt_i32_e64 s[90:91], v33, 3                          // 000000007A80: D0C4005A 00010721
	v_cndmask_b32_e64 v66, v66, v178, s[88:89]                 // 000000007A88: D1000042 01636542
	v_cndmask_b32_e64 v67, v67, v178, s[90:91]                 // 000000007A90: D1000043 016B6543
	s_mov_b32 s61, 64                                          // 000000007A98: BEBD00C0
	v_add_i32 v33, v32, s61                                    // 000000007A9C: D29C0021 00007B20
	v_cmp_gt_i32_e64 s[88:89], v33, 0                          // 000000007AA4: D0C40058 00010121
	v_cmp_gt_i32_e64 s[90:91], v33, 1                          // 000000007AAC: D0C4005A 00010321
	v_cndmask_b32_e64 v68, v68, v178, s[88:89]                 // 000000007AB4: D1000044 01636544
	v_cndmask_b32_e64 v69, v69, v178, s[90:91]                 // 000000007ABC: D1000045 016B6545
	v_cmp_gt_i32_e64 s[88:89], v33, 2                          // 000000007AC4: D0C40058 00010521
	v_cmp_gt_i32_e64 s[90:91], v33, 3                          // 000000007ACC: D0C4005A 00010721
	v_cndmask_b32_e64 v70, v70, v178, s[88:89]                 // 000000007AD4: D1000046 01636546
	v_cndmask_b32_e64 v71, v71, v178, s[90:91]                 // 000000007ADC: D1000047 016B6547
	s_mov_b32 s61, 0x80                                        // 000000007AE4: BEBD00FF 00000080
	v_add_i32 v33, v32, s61                                    // 000000007AEC: D29C0021 00007B20
	v_cmp_gt_i32_e64 s[88:89], v33, 0                          // 000000007AF4: D0C40058 00010121
	v_cmp_gt_i32_e64 s[90:91], v33, 1                          // 000000007AFC: D0C4005A 00010321
	v_cndmask_b32_e64 v72, v72, v178, s[88:89]                 // 000000007B04: D1000048 01636548
	v_cndmask_b32_e64 v73, v73, v178, s[90:91]                 // 000000007B0C: D1000049 016B6549
	v_cmp_gt_i32_e64 s[88:89], v33, 2                          // 000000007B14: D0C40058 00010521
	v_cmp_gt_i32_e64 s[90:91], v33, 3                          // 000000007B1C: D0C4005A 00010721
	v_cndmask_b32_e64 v74, v74, v178, s[88:89]                 // 000000007B24: D100004A 0163654A
	v_cndmask_b32_e64 v75, v75, v178, s[90:91]                 // 000000007B2C: D100004B 016B654B

0000000000007b34 <label_0EDF>:
	s_cmp_lt_i32 s101, 0xc0                                    // 000000007B34: BF04FF65 000000C0
	s_cbranch_scc0 label_0F58                                  // 000000007B3C: BF84006D
	s_cmp_le_i32 s101, 64                                      // 000000007B40: BF05C065
	s_cbranch_scc1 label_0EEB                                  // 000000007B44: BF850007
	s_cmp_le_i32 s101, 0x80                                    // 000000007B48: BF05FF65 00000080
	s_cbranch_scc1 label_0F0F                                  // 000000007B50: BF85001F
	s_cmp_lt_i32 s101, 0xc0                                    // 000000007B54: BF04FF65 000000C0
	s_cbranch_scc1 label_0F33                                  // 000000007B5C: BF850040
	s_branch label_0F58                                        // 000000007B60: BF820064

0000000000007b64 <label_0EEB>:
	s_mov_b32 s60, 0                                           // 000000007B64: BEBC0080
	v_and_b32_e32 v32, 15, v0                                  // 000000007B68: 2640008F
	v_add_u32_e64 v32, v32, s60                                // 000000007B6C: D1340020 00007920
	v_mul_i32_i24_e64 v33, s46, 16                             // 000000007B74: D1060021 0001202E
	v_add_u32_e32 v32, v32, v33                                // 000000007B7C: 68404320
	v_cmp_lt_u32_e64 s[60:61], v32, s101                       // 000000007B80: D0C9003C 0000CB20
	s_nop 1                                                    // 000000007B88: BF800001
	v_cndmask_b32_e64 v52, v178, v52, s[60:61]                 // 000000007B8C: D1000034 00F269B2
	v_cndmask_b32_e64 v64, v178, v64, s[60:61]                 // 000000007B94: D1000040 00F281B2
	v_cndmask_b32_e64 v53, v178, v53, s[60:61]                 // 000000007B9C: D1000035 00F26BB2
	v_cndmask_b32_e64 v65, v178, v65, s[60:61]                 // 000000007BA4: D1000041 00F283B2
	v_cndmask_b32_e64 v54, v178, v54, s[60:61]                 // 000000007BAC: D1000036 00F26DB2
	v_cndmask_b32_e64 v66, v178, v66, s[60:61]                 // 000000007BB4: D1000042 00F285B2
	v_cndmask_b32_e64 v55, v178, v55, s[60:61]                 // 000000007BBC: D1000037 00F26FB2
	v_cndmask_b32_e64 v67, v178, v67, s[60:61]                 // 000000007BC4: D1000043 00F287B2
	s_branch label_0F2A                                        // 000000007BCC: BF82001B

0000000000007bd0 <label_0F0F>:
	s_mov_b32 s60, 64                                          // 000000007BD0: BEBC00C0
	v_and_b32_e32 v32, 15, v0                                  // 000000007BD4: 2640008F
	v_add_u32_e64 v32, v32, s60                                // 000000007BD8: D1340020 00007920
	v_mul_i32_i24_e64 v33, s46, 16                             // 000000007BE0: D1060021 0001202E
	v_add_u32_e32 v32, v32, v33                                // 000000007BE8: 68404320
	v_cmp_lt_u32_e64 s[60:61], v32, s101                       // 000000007BEC: D0C9003C 0000CB20
	s_nop 1                                                    // 000000007BF4: BF800001
	v_cndmask_b32_e64 v56, v178, v56, s[60:61]                 // 000000007BF8: D1000038 00F271B2
	v_cndmask_b32_e64 v68, v178, v68, s[60:61]                 // 000000007C00: D1000044 00F289B2
	v_cndmask_b32_e64 v57, v178, v57, s[60:61]                 // 000000007C08: D1000039 00F273B2
	v_cndmask_b32_e64 v69, v178, v69, s[60:61]                 // 000000007C10: D1000045 00F28BB2
	v_cndmask_b32_e64 v58, v178, v58, s[60:61]                 // 000000007C18: D100003A 00F275B2
	v_cndmask_b32_e64 v70, v178, v70, s[60:61]                 // 000000007C20: D1000046 00F28DB2
	v_cndmask_b32_e64 v59, v178, v59, s[60:61]                 // 000000007C28: D100003B 00F277B2
	v_cndmask_b32_e64 v71, v178, v71, s[60:61]                 // 000000007C30: D1000047 00F28FB2
	s_branch label_0F4F                                        // 000000007C38: BF820025

0000000000007c3c <label_0F2A>:
	v_mov_b32_e32 v56, v178                                    // 000000007C3C: 7E7003B2
	v_mov_b32_e32 v68, v178                                    // 000000007C40: 7E8803B2
	v_mov_b32_e32 v57, v178                                    // 000000007C44: 7E7203B2
	v_mov_b32_e32 v69, v178                                    // 000000007C48: 7E8A03B2
	v_mov_b32_e32 v58, v178                                    // 000000007C4C: 7E7403B2
	v_mov_b32_e32 v70, v178                                    // 000000007C50: 7E8C03B2
	v_mov_b32_e32 v59, v178                                    // 000000007C54: 7E7603B2
	v_mov_b32_e32 v71, v178                                    // 000000007C58: 7E8E03B2
	s_branch label_0F4F                                        // 000000007C5C: BF82001C

0000000000007c60 <label_0F33>:
	s_mov_b32 s60, 0x80                                        // 000000007C60: BEBC00FF 00000080
	v_and_b32_e32 v32, 15, v0                                  // 000000007C68: 2640008F
	v_add_u32_e64 v32, v32, s60                                // 000000007C6C: D1340020 00007920
	v_mul_i32_i24_e64 v33, s46, 16                             // 000000007C74: D1060021 0001202E
	v_add_u32_e32 v32, v32, v33                                // 000000007C7C: 68404320
	v_cmp_lt_u32_e64 s[60:61], v32, s101                       // 000000007C80: D0C9003C 0000CB20
	s_nop 1                                                    // 000000007C88: BF800001
	v_cndmask_b32_e64 v60, v178, v60, s[60:61]                 // 000000007C8C: D100003C 00F279B2
	v_cndmask_b32_e64 v72, v178, v72, s[60:61]                 // 000000007C94: D1000048 00F291B2
	v_cndmask_b32_e64 v61, v178, v61, s[60:61]                 // 000000007C9C: D100003D 00F27BB2
	v_cndmask_b32_e64 v73, v178, v73, s[60:61]                 // 000000007CA4: D1000049 00F293B2
	v_cndmask_b32_e64 v62, v178, v62, s[60:61]                 // 000000007CAC: D100003E 00F27DB2
	v_cndmask_b32_e64 v74, v178, v74, s[60:61]                 // 000000007CB4: D100004A 00F295B2
	v_cndmask_b32_e64 v63, v178, v63, s[60:61]                 // 000000007CBC: D100003F 00F27FB2
	v_cndmask_b32_e64 v75, v178, v75, s[60:61]                 // 000000007CC4: D100004B 00F297B2
	s_branch label_0F58                                        // 000000007CCC: BF820009

0000000000007cd0 <label_0F4F>:
	v_mov_b32_e32 v60, v178                                    // 000000007CD0: 7E7803B2
	v_mov_b32_e32 v72, v178                                    // 000000007CD4: 7E9003B2
	v_mov_b32_e32 v61, v178                                    // 000000007CD8: 7E7A03B2
	v_mov_b32_e32 v73, v178                                    // 000000007CDC: 7E9203B2
	v_mov_b32_e32 v62, v178                                    // 000000007CE0: 7E7C03B2
	v_mov_b32_e32 v74, v178                                    // 000000007CE4: 7E9403B2
	v_mov_b32_e32 v63, v178                                    // 000000007CE8: 7E7E03B2
	v_mov_b32_e32 v75, v178                                    // 000000007CEC: 7E9603B2
	s_branch label_0F58                                        // 000000007CF0: BF820000

0000000000007cf4 <label_0F58>:
	s_addk_i32 s74, 0x1                                        // 000000007CF4: B74A0001
	s_waitcnt lgkmcnt(8)                                       // 000000007CF8: BF8CC87F
	s_barrier                                                  // 000000007CFC: BF8A0000
	v_mfma_f32_16x16x16_f16 v[76:79], v[108:109], a[72:73], 0  // 000000007D00: D3CD004C 1202916C
	v_fma_f32 v52, v52, s57, -v140                             // 000000007D08: D1CB0034 86307334
	v_fma_f32 v53, v53, s57, -v141                             // 000000007D10: D1CB0035 86347335
	v_fma_f32 v54, v54, s57, -v142                             // 000000007D18: D1CB0036 86387336
	v_fma_f32 v55, v55, s57, -v143                             // 000000007D20: D1CB0037 863C7337
	v_fma_f32 v56, v56, s57, -v140                             // 000000007D28: D1CB0038 86307338
	v_fma_f32 v57, v57, s57, -v141                             // 000000007D30: D1CB0039 86347339
	v_mfma_f32_16x16x16_f16 v[76:79], v[110:111], a[74:75], v[76:79]// 000000007D38: D3CD004C 1532956E
	ds_read_b128 a[96:99], v14 offset:4352                     // 000000007D40: DBFE1100 6000000E
	ds_read_b128 a[100:103], v14 offset:4864                   // 000000007D48: DBFE1300 6400000E
	v_mfma_f32_16x16x16_f16 v[76:79], v[112:113], a[76:77], v[76:79]// 000000007D50: D3CD004C 15329970
	v_fma_f32 v58, v58, s57, -v142                             // 000000007D58: D1CB003A 8638733A
	v_fma_f32 v59, v59, s57, -v143                             // 000000007D60: D1CB003B 863C733B
	v_fma_f32 v60, v60, s57, -v140                             // 000000007D68: D1CB003C 8630733C
	v_fma_f32 v61, v61, s57, -v141                             // 000000007D70: D1CB003D 8634733D
	v_fma_f32 v62, v62, s57, -v142                             // 000000007D78: D1CB003E 8638733E
	v_fma_f32 v63, v63, s57, -v143                             // 000000007D80: D1CB003F 863C733F
	v_mfma_f32_16x16x16_f16 v[76:79], v[114:115], a[78:79], v[76:79]// 000000007D88: D3CD004C 15329D72
	v_fma_f32 v64, v64, s57, -v144                             // 000000007D90: D1CB0040 86407340
	v_fma_f32 v65, v65, s57, -v145                             // 000000007D98: D1CB0041 86447341
	v_fma_f32 v66, v66, s57, -v146                             // 000000007DA0: D1CB0042 86487342
	v_fma_f32 v67, v67, s57, -v147                             // 000000007DA8: D1CB0043 864C7343
	v_fma_f32 v68, v68, s57, -v144                             // 000000007DB0: D1CB0044 86407344
	v_fma_f32 v69, v69, s57, -v145                             // 000000007DB8: D1CB0045 86447345
	v_mfma_f32_16x16x16_f16 v[80:83], v[108:109], a[80:81], 0  // 000000007DC0: D3CD0050 1202A16C
	v_fma_f32 v70, v70, s57, -v146                             // 000000007DC8: D1CB0046 86487346
	v_fma_f32 v71, v71, s57, -v147                             // 000000007DD0: D1CB0047 864C7347
	v_fma_f32 v72, v72, s57, -v144                             // 000000007DD8: D1CB0048 86407348
	v_fma_f32 v73, v73, s57, -v145                             // 000000007DE0: D1CB0049 86447349
	v_fma_f32 v74, v74, s57, -v146                             // 000000007DE8: D1CB004A 8648734A
	v_fma_f32 v75, v75, s57, -v147                             // 000000007DF0: D1CB004B 864C734B
	v_mfma_f32_16x16x16_f16 v[80:83], v[110:111], a[82:83], v[80:83]// 000000007DF8: D3CD0050 1542A56E
	ds_read_b128 a[104:107], v14 offset:6528                   // 000000007E00: DBFE1980 6800000E
	ds_read_b128 a[108:111], v14 offset:7040                   // 000000007E08: DBFE1B80 6C00000E
	v_mfma_f32_16x16x16_f16 v[80:83], v[112:113], a[84:85], v[80:83]// 000000007E10: D3CD0050 1542A970
	v_exp_f32_e32 v52, v52                                     // 000000007E18: 7E684134
	v_exp_f32_e32 v53, v53                                     // 000000007E1C: 7E6A4135
	v_mfma_f32_16x16x16_f16 v[80:83], v[114:115], a[86:87], v[80:83]// 000000007E20: D3CD0050 1542AD72
	v_exp_f32_e32 v54, v54                                     // 000000007E28: 7E6C4136
	v_exp_f32_e32 v55, v55                                     // 000000007E2C: 7E6E4137
	v_mfma_f32_16x16x16_f16 v[84:87], v[108:109], a[88:89], 0  // 000000007E30: D3CD0054 1202B16C
	v_exp_f32_e32 v56, v56                                     // 000000007E38: 7E704138
	v_exp_f32_e32 v57, v57                                     // 000000007E3C: 7E724139
	v_mfma_f32_16x16x16_f16 v[84:87], v[110:111], a[90:91], v[84:87]// 000000007E40: D3CD0054 1552B56E
	ds_read_b64 v[156:157], v21 offset:31232                   // 000000007E48: D8EC7A00 9C000015
	ds_read_b64 v[158:159], v21 offset:33280                   // 000000007E50: D8EC8200 9E000015
	v_mfma_f32_16x16x16_f16 v[84:87], v[112:113], a[92:93], v[84:87]// 000000007E58: D3CD0054 1552B970
	v_exp_f32_e32 v58, v58                                     // 000000007E60: 7E74413A
	v_exp_f32_e32 v59, v59                                     // 000000007E64: 7E76413B
	v_mfma_f32_16x16x16_f16 v[84:87], v[114:115], a[94:95], v[84:87]// 000000007E68: D3CD0054 1552BD72
	ds_read_b64 v[160:161], v21 offset:35328                   // 000000007E70: D8EC8A00 A0000015
	ds_read_b64 v[162:163], v21 offset:37376                   // 000000007E78: D8EC9200 A2000015
	v_mfma_f32_16x16x16_f16 v[88:91], v[116:117], a[72:73], 0  // 000000007E80: D3CD0058 12029174
	v_exp_f32_e32 v60, v60                                     // 000000007E88: 7E78413C
	v_exp_f32_e32 v61, v61                                     // 000000007E8C: 7E7A413D
	v_mfma_f32_16x16x16_f16 v[88:91], v[118:119], a[74:75], v[88:91]// 000000007E90: D3CD0058 15629576
	v_exp_f32_e32 v62, v62                                     // 000000007E98: 7E7C413E
	v_exp_f32_e32 v63, v63                                     // 000000007E9C: 7E7E413F
	v_mfma_f32_16x16x16_f16 v[88:91], v[120:121], a[76:77], v[88:91]// 000000007EA0: D3CD0058 15629978
	v_exp_f32_e32 v64, v64                                     // 000000007EA8: 7E804140
	v_exp_f32_e32 v65, v65                                     // 000000007EAC: 7E824141
	v_mfma_f32_16x16x16_f16 v[88:91], v[122:123], a[78:79], v[88:91]// 000000007EB0: D3CD0058 15629D7A
	v_exp_f32_e32 v66, v66                                     // 000000007EB8: 7E844142
	v_exp_f32_e32 v67, v67                                     // 000000007EBC: 7E864143
	v_mfma_f32_16x16x16_f16 v[92:95], v[116:117], a[80:81], 0  // 000000007EC0: D3CD005C 1202A174
	v_exp_f32_e32 v68, v68                                     // 000000007EC8: 7E884144
	v_exp_f32_e32 v69, v69                                     // 000000007ECC: 7E8A4145
	v_mfma_f32_16x16x16_f16 v[92:95], v[118:119], a[82:83], v[92:95]// 000000007ED0: D3CD005C 1572A576
	v_exp_f32_e32 v70, v70                                     // 000000007ED8: 7E8C4146
	v_exp_f32_e32 v71, v71                                     // 000000007EDC: 7E8E4147
	v_mfma_f32_16x16x16_f16 v[92:95], v[120:121], a[84:85], v[92:95]// 000000007EE0: D3CD005C 1572A978
	v_exp_f32_e32 v72, v72                                     // 000000007EE8: 7E904148
	v_exp_f32_e32 v73, v73                                     // 000000007EEC: 7E924149
	v_mfma_f32_16x16x16_f16 v[92:95], v[122:123], a[86:87], v[92:95]// 000000007EF0: D3CD005C 1572AD7A
	v_exp_f32_e32 v74, v74                                     // 000000007EF8: 7E94414A
	v_exp_f32_e32 v75, v75                                     // 000000007EFC: 7E96414B
	v_mfma_f32_16x16x16_f16 v[96:99], v[116:117], a[88:89], 0  // 000000007F00: D3CD0060 1202B174
	v_cvt_pkrtz_f16_f32 v164, v52, v53                         // 000000007F08: D29600A4 00026B34
	v_cvt_pkrtz_f16_f32 v165, v54, v55                         // 000000007F10: D29600A5 00026F36
	v_cvt_pkrtz_f16_f32 v166, v56, v57                         // 000000007F18: D29600A6 00027338
	v_cvt_pkrtz_f16_f32 v167, v58, v59                         // 000000007F20: D29600A7 0002773A
	v_cvt_pkrtz_f16_f32 v168, v60, v61                         // 000000007F28: D29600A8 00027B3C
	v_cvt_pkrtz_f16_f32 v169, v62, v63                         // 000000007F30: D29600A9 00027F3E
	v_mfma_f32_16x16x16_f16 v[96:99], v[118:119], a[90:91], v[96:99]// 000000007F38: D3CD0060 1582B576
	v_cvt_pkrtz_f16_f32 v170, v64, v65                         // 000000007F40: D29600AA 00028340
	v_cvt_pkrtz_f16_f32 v171, v66, v67                         // 000000007F48: D29600AB 00028742
	v_cvt_pkrtz_f16_f32 v172, v68, v69                         // 000000007F50: D29600AC 00028B44
	v_cvt_pkrtz_f16_f32 v173, v70, v71                         // 000000007F58: D29600AD 00028F46
	v_cvt_pkrtz_f16_f32 v174, v72, v73                         // 000000007F60: D29600AE 00029348
	v_cvt_pkrtz_f16_f32 v175, v74, v75                         // 000000007F68: D29600AF 0002974A
	v_mfma_f32_16x16x16_f16 v[96:99], v[120:121], a[92:93], v[96:99]// 000000007F70: D3CD0060 1582B978
	v_add_u32_e32 v6, s66, v6                                  // 000000007F78: 680C0C42
	v_add_u32_e32 v7, s66, v7                                  // 000000007F7C: 680E0E42
	v_add_u32_e32 v8, s66, v8                                  // 000000007F80: 68101042
	v_add_u32_e32 v9, s66, v9                                  // 000000007F84: 68121242
	v_mfma_f32_16x16x16_f16 v[96:99], v[122:123], a[94:95], v[96:99]// 000000007F88: D3CD0060 1582BD7A
	s_waitcnt lgkmcnt(0)                                       // 000000007F90: BF8CC07F
	s_barrier                                                  // 000000007F94: BF8A0000
	v_mfma_f32_16x16x16_f16 v[180:183], v[124:125], v[164:165], v[180:183]// 000000007F98: D3CD00B4 06D3497C
	v_subrev_f32_dpp v76, v176, v76 quad_perm:[0,0,0,0] row_mask:0xf bank_mask:0xf// 000000007FA0: 069898FA FF0000B0
	v_subrev_f32_dpp v77, v176, v77 quad_perm:[1,1,1,1] row_mask:0xf bank_mask:0xf// 000000007FA8: 069A9AFA FF0055B0
	v_subrev_f32_dpp v78, v176, v78 quad_perm:[2,2,2,2] row_mask:0xf bank_mask:0xf// 000000007FB0: 069C9CFA FF00AAB0
	v_subrev_f32_dpp v79, v176, v79 quad_perm:[3,3,3,3] row_mask:0xf bank_mask:0xf// 000000007FB8: 069E9EFA FF00FFB0
	v_subrev_f32_dpp v80, v176, v80 quad_perm:[0,0,0,0] row_mask:0xf bank_mask:0xf// 000000007FC0: 06A0A0FA FF0000B0
	v_subrev_f32_dpp v81, v176, v81 quad_perm:[1,1,1,1] row_mask:0xf bank_mask:0xf// 000000007FC8: 06A2A2FA FF0055B0
	v_mfma_f32_16x16x16_f16 v[184:187], v[126:127], v[164:165], v[184:187]// 000000007FD0: D3CD00B8 06E3497E
	v_subrev_f32_dpp v82, v176, v82 quad_perm:[2,2,2,2] row_mask:0xf bank_mask:0xf// 000000007FD8: 06A4A4FA FF00AAB0
	v_subrev_f32_dpp v83, v176, v83 quad_perm:[3,3,3,3] row_mask:0xf bank_mask:0xf// 000000007FE0: 06A6A6FA FF00FFB0
	v_subrev_f32_dpp v84, v176, v84 quad_perm:[0,0,0,0] row_mask:0xf bank_mask:0xf// 000000007FE8: 06A8A8FA FF0000B0
	v_subrev_f32_dpp v85, v176, v85 quad_perm:[1,1,1,1] row_mask:0xf bank_mask:0xf// 000000007FF0: 06AAAAFA FF0055B0
	v_subrev_f32_dpp v86, v176, v86 quad_perm:[2,2,2,2] row_mask:0xf bank_mask:0xf// 000000007FF8: 06ACACFA FF00AAB0
	v_subrev_f32_dpp v87, v176, v87 quad_perm:[3,3,3,3] row_mask:0xf bank_mask:0xf// 000000008000: 06AEAEFA FF00FFB0
	v_mfma_f32_16x16x16_f16 v[188:191], v[128:129], v[164:165], v[188:191]// 000000008008: D3CD00BC 06F34980
	v_mul_f32_e32 v76, v52, v76                                // 000000008010: 0A989934
	v_mul_f32_e32 v77, v53, v77                                // 000000008014: 0A9A9B35
	v_mul_f32_e32 v78, v54, v78                                // 000000008018: 0A9C9D36
	v_mul_f32_e32 v79, v55, v79                                // 00000000801C: 0A9E9F37
	v_mul_f32_e32 v80, v56, v80                                // 000000008020: 0AA0A138
	v_mul_f32_e32 v81, v57, v81                                // 000000008024: 0AA2A339
	v_mfma_f32_16x16x16_f16 v[192:195], v[130:131], v[164:165], v[192:195]// 000000008028: D3CD00C0 07034982
	v_mul_f32_e32 v82, v58, v82                                // 000000008030: 0AA4A53A
	v_mul_f32_e32 v83, v59, v83                                // 000000008034: 0AA6A73B
	v_mul_f32_e32 v84, v60, v84                                // 000000008038: 0AA8A93C
	v_mul_f32_e32 v85, v61, v85                                // 00000000803C: 0AAAAB3D
	v_mul_f32_e32 v86, v62, v86                                // 000000008040: 0AACAD3E
	v_mul_f32_e32 v87, v63, v87                                // 000000008044: 0AAEAF3F
	v_mfma_f32_16x16x16_f16 v[196:199], v[124:125], v[166:167], v[196:199]// 000000008048: D3CD00C4 07134D7C
	v_cvt_pkrtz_f16_f32 v76, v76, v77                          // 000000008050: D296004C 00029B4C
	v_cvt_pkrtz_f16_f32 v77, v78, v79                          // 000000008058: D296004D 00029F4E
	v_cvt_pkrtz_f16_f32 v78, v80, v81                          // 000000008060: D296004E 0002A350
	v_cvt_pkrtz_f16_f32 v79, v82, v83                          // 000000008068: D296004F 0002A752
	v_cvt_pkrtz_f16_f32 v80, v84, v85                          // 000000008070: D2960050 0002AB54
	v_cvt_pkrtz_f16_f32 v81, v86, v87                          // 000000008078: D2960051 0002AF56
	v_mfma_f32_16x16x16_f16 v[200:203], v[126:127], v[166:167], v[200:203]// 000000008080: D3CD00C8 07234D7E
	v_mov_b32_dpp v18, v76 quad_perm:[1,0,3,2] row_mask:0xf bank_mask:0xf// 000000008088: 7E2402FA FF00B14C
	v_perm_b32 v52, v18, v76, v17                              // 000000008090: D1ED0034 04469912
	v_mov_b32_dpp v18, v77 quad_perm:[1,0,3,2] row_mask:0xf bank_mask:0xf// 000000008098: 7E2402FA FF00B14D
	v_perm_b32 v53, v18, v77, v17                              // 0000000080A0: D1ED0035 04469B12
	v_mov_b32_dpp v18, v78 quad_perm:[1,0,3,2] row_mask:0xf bank_mask:0xf// 0000000080A8: 7E2402FA FF00B14E
	v_perm_b32 v54, v18, v78, v17                              // 0000000080B0: D1ED0036 04469D12
	v_mfma_f32_16x16x16_f16 v[204:207], v[128:129], v[166:167], v[204:207]// 0000000080B8: D3CD00CC 07334D80
	ds_write_b32 v20, v52 offset:17408                         // 0000000080C0: D81A4400 00003414
	ds_write_b32 v20, v53 offset:17952                         // 0000000080C8: D81A4620 00003514
	v_mfma_f32_16x16x16_f16 v[208:211], v[130:131], v[166:167], v[208:211]// 0000000080D0: D3CD00D0 07434D82
	v_mov_b32_dpp v18, v79 quad_perm:[1,0,3,2] row_mask:0xf bank_mask:0xf// 0000000080D8: 7E2402FA FF00B14F
	v_perm_b32 v55, v18, v79, v17                              // 0000000080E0: D1ED0037 04469F12
	v_mov_b32_dpp v18, v80 quad_perm:[1,0,3,2] row_mask:0xf bank_mask:0xf// 0000000080E8: 7E2402FA FF00B150
	v_perm_b32 v56, v18, v80, v17                              // 0000000080F0: D1ED0038 0446A112
	v_mov_b32_dpp v18, v81 quad_perm:[1,0,3,2] row_mask:0xf bank_mask:0xf// 0000000080F8: 7E2402FA FF00B151
	v_perm_b32 v57, v18, v81, v17                              // 000000008100: D1ED0039 0446A312
	v_mfma_f32_16x16x16_f16 v[212:215], v[124:125], v[168:169], v[212:215]// 000000008108: D3CD00D4 0753517C
	ds_write_b32 v20, v54 offset:19712                         // 000000008110: D81A4D00 00003614
	ds_write_b32 v20, v55 offset:20256                         // 000000008118: D81A4F20 00003714
	v_mfma_f32_16x16x16_f16 v[216:219], v[126:127], v[168:169], v[216:219]// 000000008120: D3CD00D8 0763517E
	v_subrev_f32_dpp v88, v177, v88 quad_perm:[0,0,0,0] row_mask:0xf bank_mask:0xf// 000000008128: 06B0B0FA FF0000B1
	v_subrev_f32_dpp v89, v177, v89 quad_perm:[1,1,1,1] row_mask:0xf bank_mask:0xf// 000000008130: 06B2B2FA FF0055B1
	v_subrev_f32_dpp v90, v177, v90 quad_perm:[2,2,2,2] row_mask:0xf bank_mask:0xf// 000000008138: 06B4B4FA FF00AAB1
	v_subrev_f32_dpp v91, v177, v91 quad_perm:[3,3,3,3] row_mask:0xf bank_mask:0xf// 000000008140: 06B6B6FA FF00FFB1
	v_subrev_f32_dpp v92, v177, v92 quad_perm:[0,0,0,0] row_mask:0xf bank_mask:0xf// 000000008148: 06B8B8FA FF0000B1
	v_subrev_f32_dpp v93, v177, v93 quad_perm:[1,1,1,1] row_mask:0xf bank_mask:0xf// 000000008150: 06BABAFA FF0055B1
	v_mfma_f32_16x16x16_f16 v[220:223], v[128:129], v[168:169], v[220:223]// 000000008158: D3CD00DC 07735180
	ds_write_b32 v20, v56 offset:22016                         // 000000008160: D81A5600 00003814
	ds_write_b32 v20, v57 offset:22560                         // 000000008168: D81A5820 00003914
	v_mfma_f32_16x16x16_f16 v[224:227], v[130:131], v[168:169], v[224:227]// 000000008170: D3CD00E0 07835182
	v_subrev_f32_dpp v94, v177, v94 quad_perm:[2,2,2,2] row_mask:0xf bank_mask:0xf// 000000008178: 06BCBCFA FF00AAB1
	v_subrev_f32_dpp v95, v177, v95 quad_perm:[3,3,3,3] row_mask:0xf bank_mask:0xf// 000000008180: 06BEBEFA FF00FFB1
	v_subrev_f32_dpp v96, v177, v96 quad_perm:[0,0,0,0] row_mask:0xf bank_mask:0xf// 000000008188: 06C0C0FA FF0000B1
	v_subrev_f32_dpp v97, v177, v97 quad_perm:[1,1,1,1] row_mask:0xf bank_mask:0xf// 000000008190: 06C2C2FA FF0055B1
	v_subrev_f32_dpp v98, v177, v98 quad_perm:[2,2,2,2] row_mask:0xf bank_mask:0xf// 000000008198: 06C4C4FA FF00AAB1
	v_subrev_f32_dpp v99, v177, v99 quad_perm:[3,3,3,3] row_mask:0xf bank_mask:0xf// 0000000081A0: 06C6C6FA FF00FFB1
	v_mfma_f32_16x16x16_f16 v[180:183], v[132:133], v[170:171], v[180:183]// 0000000081A8: D3CD00B4 06D35584
	v_mul_f32_e32 v88, v64, v88                                // 0000000081B0: 0AB0B140
	v_mul_f32_e32 v89, v65, v89                                // 0000000081B4: 0AB2B341
	v_mul_f32_e32 v90, v66, v90                                // 0000000081B8: 0AB4B542
	v_mul_f32_e32 v91, v67, v91                                // 0000000081BC: 0AB6B743
	v_mul_f32_e32 v92, v68, v92                                // 0000000081C0: 0AB8B944
	v_mul_f32_e32 v93, v69, v93                                // 0000000081C4: 0ABABB45
	v_mfma_f32_16x16x16_f16 v[184:187], v[134:135], v[170:171], v[184:187]// 0000000081C8: D3CD00B8 06E35586
	v_mul_f32_e32 v94, v70, v94                                // 0000000081D0: 0ABCBD46
	v_mul_f32_e32 v95, v71, v95                                // 0000000081D4: 0ABEBF47
	v_mul_f32_e32 v96, v72, v96                                // 0000000081D8: 0AC0C148
	v_mul_f32_e32 v97, v73, v97                                // 0000000081DC: 0AC2C349
	v_mul_f32_e32 v98, v74, v98                                // 0000000081E0: 0AC4C54A
	v_mul_f32_e32 v99, v75, v99                                // 0000000081E4: 0AC6C74B
	v_mfma_f32_16x16x16_f16 v[188:191], v[136:137], v[170:171], v[188:191]// 0000000081E8: D3CD00BC 06F35588
	v_cvt_pkrtz_f16_f32 v82, v88, v89                          // 0000000081F0: D2960052 0002B358
	v_cvt_pkrtz_f16_f32 v83, v90, v91                          // 0000000081F8: D2960053 0002B75A
	v_cvt_pkrtz_f16_f32 v84, v92, v93                          // 000000008200: D2960054 0002BB5C
	v_cvt_pkrtz_f16_f32 v85, v94, v95                          // 000000008208: D2960055 0002BF5E
	v_cvt_pkrtz_f16_f32 v86, v96, v97                          // 000000008210: D2960056 0002C360
	v_cvt_pkrtz_f16_f32 v87, v98, v99                          // 000000008218: D2960057 0002C762
	v_mfma_f32_16x16x16_f16 v[192:195], v[138:139], v[170:171], v[192:195]// 000000008220: D3CD00C0 0703558A
	v_mov_b32_dpp v18, v82 quad_perm:[1,0,3,2] row_mask:0xf bank_mask:0xf// 000000008228: 7E2402FA FF00B152
	v_perm_b32 v58, v18, v82, v17                              // 000000008230: D1ED003A 0446A512
	v_mov_b32_dpp v18, v83 quad_perm:[1,0,3,2] row_mask:0xf bank_mask:0xf// 000000008238: 7E2402FA FF00B153
	v_perm_b32 v59, v18, v83, v17                              // 000000008240: D1ED003B 0446A712
	v_mov_b32_dpp v18, v84 quad_perm:[1,0,3,2] row_mask:0xf bank_mask:0xf// 000000008248: 7E2402FA FF00B154
	v_perm_b32 v60, v18, v84, v17                              // 000000008250: D1ED003C 0446A912
	v_mfma_f32_16x16x16_f16 v[196:199], v[132:133], v[172:173], v[196:199]// 000000008258: D3CD00C4 07135984
	ds_write_b32 v20, v58 offset:24320                         // 000000008260: D81A5F00 00003A14
	ds_write_b32 v20, v59 offset:24864                         // 000000008268: D81A6120 00003B14
	v_mfma_f32_16x16x16_f16 v[200:203], v[134:135], v[172:173], v[200:203]// 000000008270: D3CD00C8 07235986
	v_mov_b32_dpp v18, v85 quad_perm:[1,0,3,2] row_mask:0xf bank_mask:0xf// 000000008278: 7E2402FA FF00B155
	v_perm_b32 v61, v18, v85, v17                              // 000000008280: D1ED003D 0446AB12
	v_mov_b32_dpp v18, v86 quad_perm:[1,0,3,2] row_mask:0xf bank_mask:0xf// 000000008288: 7E2402FA FF00B156
	v_perm_b32 v62, v18, v86, v17                              // 000000008290: D1ED003E 0446AD12
	v_mov_b32_dpp v18, v87 quad_perm:[1,0,3,2] row_mask:0xf bank_mask:0xf// 000000008298: 7E2402FA FF00B157
	v_perm_b32 v63, v18, v87, v17                              // 0000000082A0: D1ED003F 0446AF12
	v_mfma_f32_16x16x16_f16 v[204:207], v[136:137], v[172:173], v[204:207]// 0000000082A8: D3CD00CC 07335988
	ds_write_b32 v20, v60 offset:26624                         // 0000000082B0: D81A6800 00003C14
	ds_write_b32 v20, v61 offset:27168                         // 0000000082B8: D81A6A20 00003D14
	ds_write_b32 v20, v62 offset:28928                         // 0000000082C0: D81A7100 00003E14
	ds_write_b32 v20, v63 offset:29472                         // 0000000082C8: D81A7320 00003F14
	v_mfma_f32_16x16x16_f16 v[208:211], v[138:139], v[172:173], v[208:211]// 0000000082D0: D3CD00D0 0743598A
	v_mfma_f32_16x16x16_f16 v[212:215], v[132:133], v[174:175], v[212:215]// 0000000082D8: D3CD00D4 07535D84
	ds_write_b32 v15, v100 offset:4352                         // 0000000082E0: D81A1100 0000640F
	ds_write_b32 v15, v101 offset:5408                         // 0000000082E8: D81A1520 0000650F
	v_mfma_f32_16x16x16_f16 v[216:219], v[134:135], v[174:175], v[216:219]// 0000000082F0: D3CD00D8 07635D86
	v_mfma_f32_16x16x16_f16 v[220:223], v[136:137], v[174:175], v[220:223]// 0000000082F8: D3CD00DC 07735D88
	ds_write_b32 v15, v102 offset:6528                         // 000000008300: D81A1980 0000660F
	ds_write_b32 v15, v103 offset:7584                         // 000000008308: D81A1DA0 0000670F
	v_mfma_f32_16x16x16_f16 v[224:227], v[138:139], v[174:175], v[224:227]// 000000008310: D3CD00E0 07835D8A
	s_nop 0                                                    // 000000008318: BF800000
	s_nop 0                                                    // 00000000831C: BF800000
	s_nop 0                                                    // 000000008320: BF800000
	s_barrier                                                  // 000000008324: BF8A0000
	v_mfma_f32_16x16x16_f16 a[112:115], a[96:97], v[76:77], a[112:115]// 000000008328: D3CD8070 0DC29960
	ds_read_b32 v140, v23 offset:39936                         // 000000008330: D86C9C00 8C000017
	ds_read_b32 v144, v23 offset:40000                         // 000000008338: D86C9C40 90000017
	ds_read_b32 v176, v23 offset:40192                         // 000000008340: D86C9D00 B0000017
	ds_read_b32 v177, v23 offset:40256                         // 000000008348: D86C9D40 B1000017
	v_mfma_f32_16x16x16_f16 a[116:119], a[98:99], v[76:77], a[116:119]// 000000008350: D3CD8074 0DD29962
	buffer_atomic_add_f32 v156, v6, s[32:35], 0 idxen          // 000000008358: E1342000 80089C06
	v_mfma_f32_16x16x16_f16 a[120:123], a[100:101], v[76:77], a[120:123]// 000000008360: D3CD8078 0DE29964
	s_waitcnt lgkmcnt(8)                                       // 000000008368: BF8CC87F
	s_barrier                                                  // 00000000836C: BF8A0000
	v_mfma_f32_16x16x16_f16 a[124:127], a[102:103], v[76:77], a[124:127]// 000000008370: D3CD807C 0DF29966
	v_mfma_f32_16x16x16_f16 a[128:131], a[96:97], v[78:79], a[128:131]// 000000008378: D3CD8080 0E029D60
	ds_read_b128 v[52:55], v19 offset:17408                    // 000000008380: D9FE4400 34000013
	v_mfma_f32_16x16x16_f16 a[132:135], a[98:99], v[78:79], a[132:135]// 000000008388: D3CD8084 0E129D62
	v_mfma_f32_16x16x16_f16 a[136:139], a[100:101], v[78:79], a[136:139]// 000000008390: D3CD8088 0E229D64
	ds_read_b128 v[56:59], v19 offset:18560                    // 000000008398: D9FE4880 38000013
	v_mfma_f32_16x16x16_f16 a[140:143], a[102:103], v[78:79], a[140:143]// 0000000083A0: D3CD808C 0E329D66
	buffer_atomic_add_f32 v157, v7, s[32:35], 0 idxen          // 0000000083A8: E1342000 80089D07
	v_mfma_f32_16x16x16_f16 a[144:147], a[96:97], v[80:81], a[144:147]// 0000000083B0: D3CD8090 0E42A160
	ds_read_b128 v[60:63], v19 offset:19712                    // 0000000083B8: D9FE4D00 3C000013
	v_mfma_f32_16x16x16_f16 a[148:151], a[98:99], v[80:81], a[148:151]// 0000000083C0: D3CD8094 0E52A162
	v_mfma_f32_16x16x16_f16 a[152:155], a[100:101], v[80:81], a[152:155]// 0000000083C8: D3CD8098 0E62A164
	ds_read_b128 v[64:67], v19 offset:20864                    // 0000000083D0: D9FE5180 40000013
	v_mfma_f32_16x16x16_f16 a[156:159], a[102:103], v[80:81], a[156:159]// 0000000083D8: D3CD809C 0E72A166
	v_mfma_f32_16x16x16_f16 a[112:115], a[104:105], v[82:83], a[112:115]// 0000000083E0: D3CD8070 0DC2A568
	ds_read_b128 v[68:71], v19 offset:22016                    // 0000000083E8: D9FE5600 44000013
	v_mfma_f32_16x16x16_f16 a[116:119], a[106:107], v[82:83], a[116:119]// 0000000083F0: D3CD8074 0DD2A56A
	buffer_atomic_add_f32 v158, v6, s[32:35], 0 idxen offset:128// 0000000083F8: E1342080 80089E06
	v_mfma_f32_16x16x16_f16 a[120:123], a[108:109], v[82:83], a[120:123]// 000000008400: D3CD8078 0DE2A56C
	ds_read_b128 v[72:75], v19 offset:23168                    // 000000008408: D9FE5A80 48000013
	v_mfma_f32_16x16x16_f16 a[124:127], a[110:111], v[82:83], a[124:127]// 000000008410: D3CD807C 0DF2A56E
	v_mfma_f32_16x16x16_f16 a[128:131], a[104:105], v[84:85], a[128:131]// 000000008418: D3CD8080 0E02A968
	ds_write_b32 v15, v104 offset:13056                        // 000000008420: D81A3300 0000680F
	v_mfma_f32_16x16x16_f16 a[132:135], a[106:107], v[84:85], a[132:135]// 000000008428: D3CD8084 0E12A96A
	v_mfma_f32_16x16x16_f16 a[136:139], a[108:109], v[84:85], a[136:139]// 000000008430: D3CD8088 0E22A96C
	ds_write_b32 v15, v105 offset:14112                        // 000000008438: D81A3720 0000690F
	v_mfma_f32_16x16x16_f16 a[140:143], a[110:111], v[84:85], a[140:143]// 000000008440: D3CD808C 0E32A96E
	buffer_atomic_add_f32 v159, v7, s[32:35], 0 idxen offset:128// 000000008448: E1342080 80089F07
	v_mfma_f32_16x16x16_f16 a[144:147], a[104:105], v[86:87], a[144:147]// 000000008450: D3CD8090 0E42AD68
	ds_write_b32 v15, v106 offset:15232                        // 000000008458: D81A3B80 00006A0F
	v_mfma_f32_16x16x16_f16 a[148:151], a[106:107], v[86:87], a[148:151]// 000000008460: D3CD8094 0E52AD6A
	v_mfma_f32_16x16x16_f16 a[152:155], a[108:109], v[86:87], a[152:155]// 000000008468: D3CD8098 0E62AD6C
	ds_write_b32 v15, v107 offset:16288                        // 000000008470: D81A3FA0 00006B0F
	v_mfma_f32_16x16x16_f16 a[156:159], a[110:111], v[86:87], a[156:159]// 000000008478: D3CD809C 0E72AD6E
	s_waitcnt vmcnt(8) lgkmcnt(4)                              // 000000008480: BF8C0478
	s_barrier                                                  // 000000008484: BF8A0000
	v_mfma_f32_16x16x16_f16 v[148:151], v[52:53], a[24:25], 0  // 000000008488: D3CD0094 12023134
	ds_read_b128 a[96:99], v12                                 // 000000008490: DBFE0000 6000000C
	buffer_load_dword v40, v1, s[8:11], 0 idxen                // 000000008498: E0502000 80022801
	v_mfma_f32_16x16x16_f16 v[148:151], v[54:55], a[28:29], v[148:151]// 0000000084A0: D3CD0094 16523936
	v_mul_f32_e32 v140, s48, v140                              // 0000000084A8: 0B191830
	v_mul_f32_e32 v144, s48, v144                              // 0000000084AC: 0B212030
	s_nop 0                                                    // 0000000084B0: BF800000
	v_mfma_f32_16x16x16_f16 v[148:151], v[56:57], a[32:33], v[148:151]// 0000000084B4: D3CD0094 16524138
	ds_read_b128 a[100:103], v12 offset:512                    // 0000000084BC: DBFE0200 6400000C
	buffer_load_dword v41, v2, s[8:11], 0 idxen                // 0000000084C4: E0502000 80022902
	v_mfma_f32_16x16x16_f16 v[148:151], v[58:59], a[36:37], v[148:151]// 0000000084CC: D3CD0094 1652493A
	v_mfma_f32_16x16x16_f16 v[148:151], v[60:61], a[40:41], v[148:151]// 0000000084D4: D3CD0094 1652513C
	ds_read_b128 a[104:107], v12 offset:2176                   // 0000000084DC: DBFE0880 6800000C
	buffer_load_dword v42, v3, s[8:11], 0 idxen                // 0000000084E4: E0502000 80022A03
	v_mfma_f32_16x16x16_f16 v[148:151], v[62:63], a[44:45], v[148:151]// 0000000084EC: D3CD0094 1652593E
	v_perm_b32 v100, v37, v36, s63                             // 0000000084F4: D1ED0064 00FE4925
	v_perm_b32 v101, v37, v36, s64                             // 0000000084FC: D1ED0065 01024925
	v_mfma_f32_16x16x16_f16 v[148:151], v[64:65], a[48:49], v[148:151]// 000000008504: D3CD0094 16526140
	ds_read_b128 a[108:111], v12 offset:2688                   // 00000000850C: DBFE0A80 6C00000C
	buffer_load_dword v43, v4, s[8:11], 0 idxen                // 000000008514: E0502000 80022B04
	v_mfma_f32_16x16x16_f16 v[148:151], v[66:67], a[52:53], v[148:151]// 00000000851C: D3CD0094 16526942
	v_perm_b32 v102, v39, v38, s63                             // 000000008524: D1ED0066 00FE4D27
	v_perm_b32 v103, v39, v38, s64                             // 00000000852C: D1ED0067 01024D27
	v_mfma_f32_16x16x16_f16 v[148:151], v[68:69], a[56:57], v[148:151]// 000000008534: D3CD0094 16527144
	ds_read_b128 v[108:111], v12 offset:8704                   // 00000000853C: D9FE2200 6C00000C
	buffer_load_dword v48, v228, s[20:23], 0 idxen             // 000000008544: E0502000 800530E4
	v_mfma_f32_16x16x16_f16 v[148:151], v[70:71], a[60:61], v[148:151]// 00000000854C: D3CD0094 16527946
	v_perm_b32 v104, v45, v44, s63                             // 000000008554: D1ED0068 00FE592D
	v_perm_b32 v105, v45, v44, s64                             // 00000000855C: D1ED0069 0102592D
	v_mfma_f32_16x16x16_f16 v[148:151], v[72:73], a[64:65], v[148:151]// 000000008564: D3CD0094 16528148
	ds_read_b128 v[112:115], v12 offset:9216                   // 00000000856C: D9FE2400 7000000C
	buffer_load_dword v49, v229, s[20:23], 0 idxen             // 000000008574: E0502000 800531E5
	v_mfma_f32_16x16x16_f16 v[148:151], v[74:75], a[68:69], v[148:151]// 00000000857C: D3CD0094 1652894A
	v_perm_b32 v106, v47, v46, s63                             // 000000008584: D1ED006A 00FE5D2F
	v_perm_b32 v107, v47, v46, s64                             // 00000000858C: D1ED006B 01025D2F
	v_mfma_f32_16x16x16_f16 v[152:155], v[52:53], a[26:27], 0  // 000000008594: D3CD0098 12023534
	ds_read_b128 v[116:119], v12 offset:10880                  // 00000000859C: D9FE2A80 7400000C
	buffer_load_dword v50, v230, s[20:23], 0 idxen             // 0000000085A4: E0502000 800532E6
	v_mfma_f32_16x16x16_f16 v[152:155], v[54:55], a[30:31], v[152:155]// 0000000085AC: D3CD0098 16623D36
	v_mov_b32_dpp v143, v140 quad_perm:[3,3,3,3] row_mask:0xf bank_mask:0xf// 0000000085B4: 7F1E02FA FF00FF8C
	v_mov_b32_dpp v142, v140 quad_perm:[2,2,2,2] row_mask:0xf bank_mask:0xf// 0000000085BC: 7F1C02FA FF00AA8C
	v_mov_b32_dpp v141, v140 quad_perm:[1,1,1,1] row_mask:0xf bank_mask:0xf// 0000000085C4: 7F1A02FA FF00558C
	v_mov_b32_dpp v140, v140 quad_perm:[0,0,0,0] row_mask:0xf bank_mask:0xf// 0000000085CC: 7F1802FA FF00008C
	v_mfma_f32_16x16x16_f16 v[152:155], v[56:57], a[34:35], v[152:155]// 0000000085D4: D3CD0098 16624538
	ds_read_b128 v[120:123], v12 offset:11392                  // 0000000085DC: D9FE2C80 7800000C
	buffer_load_dword v51, v231, s[20:23], 0 idxen             // 0000000085E4: E0502000 800533E7
	v_mfma_f32_16x16x16_f16 v[152:155], v[58:59], a[38:39], v[152:155]// 0000000085EC: D3CD0098 16624D3A
	v_mov_b32_dpp v147, v144 quad_perm:[3,3,3,3] row_mask:0xf bank_mask:0xf// 0000000085F4: 7F2602FA FF00FF90
	v_mov_b32_dpp v146, v144 quad_perm:[2,2,2,2] row_mask:0xf bank_mask:0xf// 0000000085FC: 7F2402FA FF00AA90
	v_mov_b32_dpp v145, v144 quad_perm:[1,1,1,1] row_mask:0xf bank_mask:0xf// 000000008604: 7F2202FA FF005590
	v_mov_b32_dpp v144, v144 quad_perm:[0,0,0,0] row_mask:0xf bank_mask:0xf// 00000000860C: 7F2002FA FF000090
	s_add_u32 s60, 0x80, s59                                   // 000000008614: 803C3BFF 00000080
	v_mfma_f32_16x16x16_f16 v[152:155], v[60:61], a[42:43], v[152:155]// 00000000861C: D3CD0098 1662553C
	buffer_load_dword v11, s[24:27], 0 idxen lds               // 000000008624: E0512000 8006000B
	v_mfma_f32_16x16x16_f16 v[152:155], v[62:63], a[46:47], v[152:155]// 00000000862C: D3CD0098 16625D3E
	s_cmp_lt_u32 s60, s58                                      // 000000008634: BF0A3A3C
	s_cselect_b32 s68, s68, 0                                  // 000000008638: 85448044
	s_cselect_b32 s99, s99, 0                                  // 00000000863C: 85638063
	s_cselect_b32 s69, s69, 0                                  // 000000008640: 85458045
	v_mfma_f32_16x16x16_f16 v[152:155], v[64:65], a[50:51], v[152:155]// 000000008644: D3CD0098 16626540
	v_add_u32_e32 v1, s68, v1                                  // 00000000864C: 68020244
	v_add_u32_e32 v2, s68, v2                                  // 000000008650: 68040444
	v_add_u32_e32 v3, s68, v3                                  // 000000008654: 68060644
	v_add_u32_e32 v4, s68, v4                                  // 000000008658: 68080844
	v_mfma_f32_16x16x16_f16 v[152:155], v[66:67], a[54:55], v[152:155]// 00000000865C: D3CD0098 16626D42
	v_add_u32_e32 v228, s99, v228                              // 000000008664: 69C9C863
	v_add_u32_e32 v229, s99, v229                              // 000000008668: 69CBCA63
	v_add_u32_e32 v230, s99, v230                              // 00000000866C: 69CDCC63
	v_add_u32_e32 v231, s99, v231                              // 000000008670: 69CFCE63
	v_mfma_f32_16x16x16_f16 v[152:155], v[68:69], a[58:59], v[152:155]// 000000008674: D3CD0098 16627544
	s_mov_b32 m0, s78                                          // 00000000867C: BEFC004E
	v_add_u32_e32 v11, s69, v11                                // 000000008680: 68161645
	v_mfma_f32_16x16x16_f16 v[152:155], v[70:71], a[62:63], v[152:155]// 000000008684: D3CD0098 16627D46
	s_cmp_ge_u32 s59, s73                                      // 00000000868C: BF09493B
	s_cselect_b32 s66, s67, s66                                // 000000008690: 85424243
	v_mfma_f32_16x16x16_f16 v[152:155], v[72:73], a[66:67], v[152:155]// 000000008694: D3CD0098 16628548
	s_addk_i32 s59, 0x20                                       // 00000000869C: B73B0020
	s_nop 0                                                    // 0000000086A0: BF800000
	s_cmp_lt_i32 s59, s58                                      // 0000000086A4: BF043A3B
	v_mfma_f32_16x16x16_f16 v[152:155], v[74:75], a[70:71], v[152:155]// 0000000086A8: D3CD0098 16628D4A
	s_cbranch_scc0 label_0DF8                                  // 0000000086B0: BF84FC39
	s_waitcnt lgkmcnt(0)                                       // 0000000086B4: BF8CC07F
	s_barrier                                                  // 0000000086B8: BF8A0000
	v_mfma_f32_16x16x16_f16 v[52:55], a[96:97], a[0:1], 0      // 0000000086BC: D3CD0034 1A020160
	v_mul_f32_e32 v148, s47, v148                              // 0000000086C4: 0B29282F
	v_mul_f32_e32 v149, s47, v149                              // 0000000086C8: 0B2B2A2F
	v_mfma_f32_16x16x16_f16 v[52:55], a[98:99], a[2:3], v[52:55]// 0000000086CC: D3CD0034 1CD20562
	ds_write_b32 v13, v44 offset:8704                          // 0000000086D4: D81A2200 00002C0D
	ds_write_b32 v13, v45 offset:9760                          // 0000000086DC: D81A2620 00002D0D
	v_mfma_f32_16x16x16_f16 v[52:55], a[100:101], a[4:5], v[52:55]// 0000000086E4: D3CD0034 1CD20964
	v_mul_f32_e32 v150, s47, v150                              // 0000000086EC: 0B2D2C2F
	v_mul_f32_e32 v151, s47, v151                              // 0000000086F0: 0B2F2E2F
	v_mfma_f32_16x16x16_f16 v[52:55], a[102:103], a[6:7], v[52:55]// 0000000086F4: D3CD0034 1CD20D66
	ds_write_b32 v13, v46 offset:10880                         // 0000000086FC: D81A2A80 00002E0D
	ds_write_b32 v13, v47 offset:11936                         // 000000008704: D81A2EA0 00002F0D
	v_mfma_f32_16x16x16_f16 v[56:59], a[96:97], a[8:9], 0      // 00000000870C: D3CD0038 1A021160
	v_mul_f32_e32 v152, s47, v152                              // 000000008714: 0B31302F
	v_mul_f32_e32 v153, s47, v153                              // 000000008718: 0B33322F
	v_mfma_f32_16x16x16_f16 v[56:59], a[98:99], a[10:11], v[56:59]// 00000000871C: D3CD0038 1CE21562
	ds_write_b64 v22, v[148:149] offset:31232                  // 000000008724: D89A7A00 00009416
	v_mfma_f32_16x16x16_f16 v[56:59], a[100:101], a[12:13], v[56:59]// 00000000872C: D3CD0038 1CE21964
	v_mul_f32_e32 v154, s47, v154                              // 000000008734: 0B35342F
	v_mul_f32_e32 v155, s47, v155                              // 000000008738: 0B37362F
	v_mfma_f32_16x16x16_f16 v[56:59], a[102:103], a[14:15], v[56:59]// 00000000873C: D3CD0038 1CE21D66
	ds_write_b64 v22, v[150:151] offset:31744                  // 000000008744: D89A7C00 00009616
	v_mfma_f32_16x16x16_f16 v[60:63], a[96:97], a[16:17], 0    // 00000000874C: D3CD003C 1A022160
	buffer_atomic_add_f32 v160, v8, s[32:35], 0 idxen          // 000000008754: E1342000 8008A008
	v_mfma_f32_16x16x16_f16 v[60:63], a[98:99], a[18:19], v[60:63]// 00000000875C: D3CD003C 1CF22562
	ds_write_b64 v22, v[152:153] offset:32256                  // 000000008764: D89A7E00 00009816
	v_mfma_f32_16x16x16_f16 v[60:63], a[100:101], a[20:21], v[60:63]// 00000000876C: D3CD003C 1CF22964
	v_mfma_f32_16x16x16_f16 v[60:63], a[102:103], a[22:23], v[60:63]// 000000008774: D3CD003C 1CF22D66
	ds_write_b64 v22, v[154:155] offset:32768                  // 00000000877C: D89A8000 00009A16
	v_mfma_f32_16x16x16_f16 v[64:67], a[104:105], a[0:1], 0    // 000000008784: D3CD0040 1A020168
	buffer_atomic_add_f32 v161, v9, s[32:35], 0 idxen          // 00000000878C: E1342000 8008A109
	v_mfma_f32_16x16x16_f16 v[64:67], a[106:107], a[2:3], v[64:67]// 000000008794: D3CD0040 1D02056A
	ds_read_b128 v[124:127], v14 offset:13056                  // 00000000879C: D9FE3300 7C00000E
	ds_write_b32 v13, v36                                      // 0000000087A4: D81A0000 0000240D
	v_mfma_f32_16x16x16_f16 v[64:67], a[108:109], a[4:5], v[64:67]// 0000000087AC: D3CD0040 1D02096C
	v_mfma_f32_16x16x16_f16 v[64:67], a[110:111], a[6:7], v[64:67]// 0000000087B4: D3CD0040 1D020D6E
	v_mfma_f32_16x16x16_f16 v[68:71], a[104:105], a[8:9], 0    // 0000000087BC: D3CD0044 1A021168
	ds_read_b128 v[128:131], v14 offset:13568                  // 0000000087C4: D9FE3500 8000000E
	ds_write_b32 v13, v37 offset:1056                          // 0000000087CC: D81A0420 0000250D
	v_mfma_f32_16x16x16_f16 v[68:71], a[106:107], a[10:11], v[68:71]// 0000000087D4: D3CD0044 1D12156A
	buffer_atomic_add_f32 v162, v8, s[32:35], 0 idxen offset:128// 0000000087DC: E1342080 8008A208
	v_mfma_f32_16x16x16_f16 v[68:71], a[108:109], a[12:13], v[68:71]// 0000000087E4: D3CD0044 1D12196C
	v_mfma_f32_16x16x16_f16 v[68:71], a[110:111], a[14:15], v[68:71]// 0000000087EC: D3CD0044 1D121D6E
	ds_read_b128 v[132:135], v14 offset:15232                  // 0000000087F4: D9FE3B80 8400000E
	ds_write_b32 v13, v38 offset:2176                          // 0000000087FC: D81A0880 0000260D
	v_mfma_f32_16x16x16_f16 v[72:75], a[104:105], a[16:17], 0  // 000000008804: D3CD0048 1A022168
	v_mfma_f32_16x16x16_f16 v[72:75], a[106:107], a[18:19], v[72:75]// 00000000880C: D3CD0048 1D22256A
	buffer_atomic_add_f32 v163, v9, s[32:35], 0 idxen offset:128// 000000008814: E1342080 8008A309
	v_mfma_f32_16x16x16_f16 v[72:75], a[108:109], a[20:21], v[72:75]// 00000000881C: D3CD0048 1D22296C
	ds_read_b128 v[136:139], v14 offset:15744                  // 000000008824: D9FE3D80 8800000E
	ds_write_b32 v13, v39 offset:3232                          // 00000000882C: D81A0CA0 0000270D
	v_mfma_f32_16x16x16_f16 v[72:75], a[110:111], a[22:23], v[72:75]// 000000008834: D3CD0048 1D222D6E
	s_cmp_eq_i32 s92, 0                                        // 00000000883C: BF00805C
	s_cbranch_scc1 label_1325                                  // 000000008840: BF8500F0
	s_cmp_lt_i32 s74, 6                                        // 000000008844: BF04864A
	s_cbranch_scc0 label_12AC                                  // 000000008848: BF84007E
	s_lshl_b32 s60, s74, 5                                     // 00000000884C: 8E3C854A
	s_lshl_b32 s61, 0, 4                                       // 000000008850: 8E3D8480
	s_add_i32 s60, s60, s61                                    // 000000008854: 813C3D3C
	v_sub_i32 v32, v232, s60                                   // 000000008858: D29D0020 000079E8
	s_mov_b32 s61, 0                                           // 000000008860: BEBD0080
	v_add_i32 v33, v32, s61                                    // 000000008864: D29C0021 00007B20
	v_cmp_gt_i32_e64 s[88:89], v33, 0                          // 00000000886C: D0C40058 00010121
	v_cmp_gt_i32_e64 s[90:91], v33, 1                          // 000000008874: D0C4005A 00010321
	v_cndmask_b32_e64 v52, v52, v178, s[88:89]                 // 00000000887C: D1000034 01636534
	v_cndmask_b32_e64 v53, v53, v178, s[90:91]                 // 000000008884: D1000035 016B6535
	v_cmp_gt_i32_e64 s[88:89], v33, 2                          // 00000000888C: D0C40058 00010521
	v_cmp_gt_i32_e64 s[90:91], v33, 3                          // 000000008894: D0C4005A 00010721
	v_cndmask_b32_e64 v54, v54, v178, s[88:89]                 // 00000000889C: D1000036 01636536
	v_cndmask_b32_e64 v55, v55, v178, s[90:91]                 // 0000000088A4: D1000037 016B6537
	s_mov_b32 s61, 64                                          // 0000000088AC: BEBD00C0
	v_add_i32 v33, v32, s61                                    // 0000000088B0: D29C0021 00007B20
	v_cmp_gt_i32_e64 s[88:89], v33, 0                          // 0000000088B8: D0C40058 00010121
	v_cmp_gt_i32_e64 s[90:91], v33, 1                          // 0000000088C0: D0C4005A 00010321
	v_cndmask_b32_e64 v56, v56, v178, s[88:89]                 // 0000000088C8: D1000038 01636538
	v_cndmask_b32_e64 v57, v57, v178, s[90:91]                 // 0000000088D0: D1000039 016B6539
	v_cmp_gt_i32_e64 s[88:89], v33, 2                          // 0000000088D8: D0C40058 00010521
	v_cmp_gt_i32_e64 s[90:91], v33, 3                          // 0000000088E0: D0C4005A 00010721
	v_cndmask_b32_e64 v58, v58, v178, s[88:89]                 // 0000000088E8: D100003A 0163653A
	v_cndmask_b32_e64 v59, v59, v178, s[90:91]                 // 0000000088F0: D100003B 016B653B
	s_mov_b32 s61, 0x80                                        // 0000000088F8: BEBD00FF 00000080
	v_add_i32 v33, v32, s61                                    // 000000008900: D29C0021 00007B20
	v_cmp_gt_i32_e64 s[88:89], v33, 0                          // 000000008908: D0C40058 00010121
	v_cmp_gt_i32_e64 s[90:91], v33, 1                          // 000000008910: D0C4005A 00010321
	v_cndmask_b32_e64 v60, v60, v178, s[88:89]                 // 000000008918: D100003C 0163653C
	v_cndmask_b32_e64 v61, v61, v178, s[90:91]                 // 000000008920: D100003D 016B653D
	v_cmp_gt_i32_e64 s[88:89], v33, 2                          // 000000008928: D0C40058 00010521
	v_cmp_gt_i32_e64 s[90:91], v33, 3                          // 000000008930: D0C4005A 00010721
	v_cndmask_b32_e64 v62, v62, v178, s[88:89]                 // 000000008938: D100003E 0163653E
	v_cndmask_b32_e64 v63, v63, v178, s[90:91]                 // 000000008940: D100003F 016B653F
	s_lshl_b32 s60, s74, 5                                     // 000000008948: 8E3C854A
	s_lshl_b32 s61, 1, 4                                       // 00000000894C: 8E3D8481
	s_add_i32 s60, s60, s61                                    // 000000008950: 813C3D3C
	v_sub_i32 v32, v232, s60                                   // 000000008954: D29D0020 000079E8
	s_mov_b32 s61, 0                                           // 00000000895C: BEBD0080
	v_add_i32 v33, v32, s61                                    // 000000008960: D29C0021 00007B20
	v_cmp_gt_i32_e64 s[88:89], v33, 0                          // 000000008968: D0C40058 00010121
	v_cmp_gt_i32_e64 s[90:91], v33, 1                          // 000000008970: D0C4005A 00010321
	v_cndmask_b32_e64 v64, v64, v178, s[88:89]                 // 000000008978: D1000040 01636540
	v_cndmask_b32_e64 v65, v65, v178, s[90:91]                 // 000000008980: D1000041 016B6541
	v_cmp_gt_i32_e64 s[88:89], v33, 2                          // 000000008988: D0C40058 00010521
	v_cmp_gt_i32_e64 s[90:91], v33, 3                          // 000000008990: D0C4005A 00010721
	v_cndmask_b32_e64 v66, v66, v178, s[88:89]                 // 000000008998: D1000042 01636542
	v_cndmask_b32_e64 v67, v67, v178, s[90:91]                 // 0000000089A0: D1000043 016B6543
	s_mov_b32 s61, 64                                          // 0000000089A8: BEBD00C0
	v_add_i32 v33, v32, s61                                    // 0000000089AC: D29C0021 00007B20
	v_cmp_gt_i32_e64 s[88:89], v33, 0                          // 0000000089B4: D0C40058 00010121
	v_cmp_gt_i32_e64 s[90:91], v33, 1                          // 0000000089BC: D0C4005A 00010321
	v_cndmask_b32_e64 v68, v68, v178, s[88:89]                 // 0000000089C4: D1000044 01636544
	v_cndmask_b32_e64 v69, v69, v178, s[90:91]                 // 0000000089CC: D1000045 016B6545
	v_cmp_gt_i32_e64 s[88:89], v33, 2                          // 0000000089D4: D0C40058 00010521
	v_cmp_gt_i32_e64 s[90:91], v33, 3                          // 0000000089DC: D0C4005A 00010721
	v_cndmask_b32_e64 v70, v70, v178, s[88:89]                 // 0000000089E4: D1000046 01636546
	v_cndmask_b32_e64 v71, v71, v178, s[90:91]                 // 0000000089EC: D1000047 016B6547
	s_mov_b32 s61, 0x80                                        // 0000000089F4: BEBD00FF 00000080
	v_add_i32 v33, v32, s61                                    // 0000000089FC: D29C0021 00007B20
	v_cmp_gt_i32_e64 s[88:89], v33, 0                          // 000000008A04: D0C40058 00010121
	v_cmp_gt_i32_e64 s[90:91], v33, 1                          // 000000008A0C: D0C4005A 00010321
	v_cndmask_b32_e64 v72, v72, v178, s[88:89]                 // 000000008A14: D1000048 01636548
	v_cndmask_b32_e64 v73, v73, v178, s[90:91]                 // 000000008A1C: D1000049 016B6549
	v_cmp_gt_i32_e64 s[88:89], v33, 2                          // 000000008A24: D0C40058 00010521
	v_cmp_gt_i32_e64 s[90:91], v33, 3                          // 000000008A2C: D0C4005A 00010721
	v_cndmask_b32_e64 v74, v74, v178, s[88:89]                 // 000000008A34: D100004A 0163654A
	v_cndmask_b32_e64 v75, v75, v178, s[90:91]                 // 000000008A3C: D100004B 016B654B

0000000000008a44 <label_12AC>:
	s_cmp_lt_i32 s101, 0xc0                                    // 000000008A44: BF04FF65 000000C0
	s_cbranch_scc0 label_1325                                  // 000000008A4C: BF84006D
	s_cmp_le_i32 s101, 64                                      // 000000008A50: BF05C065
	s_cbranch_scc1 label_12B8                                  // 000000008A54: BF850007
	s_cmp_le_i32 s101, 0x80                                    // 000000008A58: BF05FF65 00000080
	s_cbranch_scc1 label_12DC                                  // 000000008A60: BF85001F
	s_cmp_lt_i32 s101, 0xc0                                    // 000000008A64: BF04FF65 000000C0
	s_cbranch_scc1 label_1300                                  // 000000008A6C: BF850040
	s_branch label_1325                                        // 000000008A70: BF820064

0000000000008a74 <label_12B8>:
	s_mov_b32 s60, 0                                           // 000000008A74: BEBC0080
	v_and_b32_e32 v32, 15, v0                                  // 000000008A78: 2640008F
	v_add_u32_e64 v32, v32, s60                                // 000000008A7C: D1340020 00007920
	v_mul_i32_i24_e64 v33, s46, 16                             // 000000008A84: D1060021 0001202E
	v_add_u32_e32 v32, v32, v33                                // 000000008A8C: 68404320
	v_cmp_lt_u32_e64 s[60:61], v32, s101                       // 000000008A90: D0C9003C 0000CB20
	s_nop 1                                                    // 000000008A98: BF800001
	v_cndmask_b32_e64 v52, v178, v52, s[60:61]                 // 000000008A9C: D1000034 00F269B2
	v_cndmask_b32_e64 v64, v178, v64, s[60:61]                 // 000000008AA4: D1000040 00F281B2
	v_cndmask_b32_e64 v53, v178, v53, s[60:61]                 // 000000008AAC: D1000035 00F26BB2
	v_cndmask_b32_e64 v65, v178, v65, s[60:61]                 // 000000008AB4: D1000041 00F283B2
	v_cndmask_b32_e64 v54, v178, v54, s[60:61]                 // 000000008ABC: D1000036 00F26DB2
	v_cndmask_b32_e64 v66, v178, v66, s[60:61]                 // 000000008AC4: D1000042 00F285B2
	v_cndmask_b32_e64 v55, v178, v55, s[60:61]                 // 000000008ACC: D1000037 00F26FB2
	v_cndmask_b32_e64 v67, v178, v67, s[60:61]                 // 000000008AD4: D1000043 00F287B2
	s_branch label_12F7                                        // 000000008ADC: BF82001B

0000000000008ae0 <label_12DC>:
	s_mov_b32 s60, 64                                          // 000000008AE0: BEBC00C0
	v_and_b32_e32 v32, 15, v0                                  // 000000008AE4: 2640008F
	v_add_u32_e64 v32, v32, s60                                // 000000008AE8: D1340020 00007920
	v_mul_i32_i24_e64 v33, s46, 16                             // 000000008AF0: D1060021 0001202E
	v_add_u32_e32 v32, v32, v33                                // 000000008AF8: 68404320
	v_cmp_lt_u32_e64 s[60:61], v32, s101                       // 000000008AFC: D0C9003C 0000CB20
	s_nop 1                                                    // 000000008B04: BF800001
	v_cndmask_b32_e64 v56, v178, v56, s[60:61]                 // 000000008B08: D1000038 00F271B2
	v_cndmask_b32_e64 v68, v178, v68, s[60:61]                 // 000000008B10: D1000044 00F289B2
	v_cndmask_b32_e64 v57, v178, v57, s[60:61]                 // 000000008B18: D1000039 00F273B2
	v_cndmask_b32_e64 v69, v178, v69, s[60:61]                 // 000000008B20: D1000045 00F28BB2
	v_cndmask_b32_e64 v58, v178, v58, s[60:61]                 // 000000008B28: D100003A 00F275B2
	v_cndmask_b32_e64 v70, v178, v70, s[60:61]                 // 000000008B30: D1000046 00F28DB2
	v_cndmask_b32_e64 v59, v178, v59, s[60:61]                 // 000000008B38: D100003B 00F277B2
	v_cndmask_b32_e64 v71, v178, v71, s[60:61]                 // 000000008B40: D1000047 00F28FB2
	s_branch label_131C                                        // 000000008B48: BF820025

0000000000008b4c <label_12F7>:
	v_mov_b32_e32 v56, v178                                    // 000000008B4C: 7E7003B2
	v_mov_b32_e32 v68, v178                                    // 000000008B50: 7E8803B2
	v_mov_b32_e32 v57, v178                                    // 000000008B54: 7E7203B2
	v_mov_b32_e32 v69, v178                                    // 000000008B58: 7E8A03B2
	v_mov_b32_e32 v58, v178                                    // 000000008B5C: 7E7403B2
	v_mov_b32_e32 v70, v178                                    // 000000008B60: 7E8C03B2
	v_mov_b32_e32 v59, v178                                    // 000000008B64: 7E7603B2
	v_mov_b32_e32 v71, v178                                    // 000000008B68: 7E8E03B2
	s_branch label_131C                                        // 000000008B6C: BF82001C

0000000000008b70 <label_1300>:
	s_mov_b32 s60, 0x80                                        // 000000008B70: BEBC00FF 00000080
	v_and_b32_e32 v32, 15, v0                                  // 000000008B78: 2640008F
	v_add_u32_e64 v32, v32, s60                                // 000000008B7C: D1340020 00007920
	v_mul_i32_i24_e64 v33, s46, 16                             // 000000008B84: D1060021 0001202E
	v_add_u32_e32 v32, v32, v33                                // 000000008B8C: 68404320
	v_cmp_lt_u32_e64 s[60:61], v32, s101                       // 000000008B90: D0C9003C 0000CB20
	s_nop 1                                                    // 000000008B98: BF800001
	v_cndmask_b32_e64 v60, v178, v60, s[60:61]                 // 000000008B9C: D100003C 00F279B2
	v_cndmask_b32_e64 v72, v178, v72, s[60:61]                 // 000000008BA4: D1000048 00F291B2
	v_cndmask_b32_e64 v61, v178, v61, s[60:61]                 // 000000008BAC: D100003D 00F27BB2
	v_cndmask_b32_e64 v73, v178, v73, s[60:61]                 // 000000008BB4: D1000049 00F293B2
	v_cndmask_b32_e64 v62, v178, v62, s[60:61]                 // 000000008BBC: D100003E 00F27DB2
	v_cndmask_b32_e64 v74, v178, v74, s[60:61]                 // 000000008BC4: D100004A 00F295B2
	v_cndmask_b32_e64 v63, v178, v63, s[60:61]                 // 000000008BCC: D100003F 00F27FB2
	v_cndmask_b32_e64 v75, v178, v75, s[60:61]                 // 000000008BD4: D100004B 00F297B2
	s_branch label_1325                                        // 000000008BDC: BF820009

0000000000008be0 <label_131C>:
	v_mov_b32_e32 v60, v178                                    // 000000008BE0: 7E7803B2
	v_mov_b32_e32 v72, v178                                    // 000000008BE4: 7E9003B2
	v_mov_b32_e32 v61, v178                                    // 000000008BE8: 7E7A03B2
	v_mov_b32_e32 v73, v178                                    // 000000008BEC: 7E9203B2
	v_mov_b32_e32 v62, v178                                    // 000000008BF0: 7E7C03B2
	v_mov_b32_e32 v74, v178                                    // 000000008BF4: 7E9403B2
	v_mov_b32_e32 v63, v178                                    // 000000008BF8: 7E7E03B2
	v_mov_b32_e32 v75, v178                                    // 000000008BFC: 7E9603B2
	s_branch label_1325                                        // 000000008C00: BF820000

0000000000008c04 <label_1325>:
	s_addk_i32 s74, 0x1                                        // 000000008C04: B74A0001
	s_waitcnt lgkmcnt(8)                                       // 000000008C08: BF8CC87F
	s_barrier                                                  // 000000008C0C: BF8A0000
	v_mfma_f32_16x16x16_f16 v[76:79], v[108:109], a[72:73], 0  // 000000008C10: D3CD004C 1202916C
	v_fma_f32 v52, v52, s57, -v140                             // 000000008C18: D1CB0034 86307334
	v_fma_f32 v53, v53, s57, -v141                             // 000000008C20: D1CB0035 86347335
	v_fma_f32 v54, v54, s57, -v142                             // 000000008C28: D1CB0036 86387336
	v_fma_f32 v55, v55, s57, -v143                             // 000000008C30: D1CB0037 863C7337
	v_fma_f32 v56, v56, s57, -v140                             // 000000008C38: D1CB0038 86307338
	v_fma_f32 v57, v57, s57, -v141                             // 000000008C40: D1CB0039 86347339
	v_mfma_f32_16x16x16_f16 v[76:79], v[110:111], a[74:75], v[76:79]// 000000008C48: D3CD004C 1532956E
	ds_read_b128 a[96:99], v14 offset:4352                     // 000000008C50: DBFE1100 6000000E
	ds_read_b128 a[100:103], v14 offset:4864                   // 000000008C58: DBFE1300 6400000E
	v_mfma_f32_16x16x16_f16 v[76:79], v[112:113], a[76:77], v[76:79]// 000000008C60: D3CD004C 15329970
	v_fma_f32 v58, v58, s57, -v142                             // 000000008C68: D1CB003A 8638733A
	v_fma_f32 v59, v59, s57, -v143                             // 000000008C70: D1CB003B 863C733B
	v_fma_f32 v60, v60, s57, -v140                             // 000000008C78: D1CB003C 8630733C
	v_fma_f32 v61, v61, s57, -v141                             // 000000008C80: D1CB003D 8634733D
	v_fma_f32 v62, v62, s57, -v142                             // 000000008C88: D1CB003E 8638733E
	v_fma_f32 v63, v63, s57, -v143                             // 000000008C90: D1CB003F 863C733F
	v_mfma_f32_16x16x16_f16 v[76:79], v[114:115], a[78:79], v[76:79]// 000000008C98: D3CD004C 15329D72
	v_fma_f32 v64, v64, s57, -v144                             // 000000008CA0: D1CB0040 86407340
	v_fma_f32 v65, v65, s57, -v145                             // 000000008CA8: D1CB0041 86447341
	v_fma_f32 v66, v66, s57, -v146                             // 000000008CB0: D1CB0042 86487342
	v_fma_f32 v67, v67, s57, -v147                             // 000000008CB8: D1CB0043 864C7343
	v_fma_f32 v68, v68, s57, -v144                             // 000000008CC0: D1CB0044 86407344
	v_fma_f32 v69, v69, s57, -v145                             // 000000008CC8: D1CB0045 86447345
	v_mfma_f32_16x16x16_f16 v[80:83], v[108:109], a[80:81], 0  // 000000008CD0: D3CD0050 1202A16C
	v_fma_f32 v70, v70, s57, -v146                             // 000000008CD8: D1CB0046 86487346
	v_fma_f32 v71, v71, s57, -v147                             // 000000008CE0: D1CB0047 864C7347
	v_fma_f32 v72, v72, s57, -v144                             // 000000008CE8: D1CB0048 86407348
	v_fma_f32 v73, v73, s57, -v145                             // 000000008CF0: D1CB0049 86447349
	v_fma_f32 v74, v74, s57, -v146                             // 000000008CF8: D1CB004A 8648734A
	v_fma_f32 v75, v75, s57, -v147                             // 000000008D00: D1CB004B 864C734B
	v_mfma_f32_16x16x16_f16 v[80:83], v[110:111], a[82:83], v[80:83]// 000000008D08: D3CD0050 1542A56E
	ds_read_b128 a[104:107], v14 offset:6528                   // 000000008D10: DBFE1980 6800000E
	ds_read_b128 a[108:111], v14 offset:7040                   // 000000008D18: DBFE1B80 6C00000E
	v_mfma_f32_16x16x16_f16 v[80:83], v[112:113], a[84:85], v[80:83]// 000000008D20: D3CD0050 1542A970
	v_exp_f32_e32 v52, v52                                     // 000000008D28: 7E684134
	v_exp_f32_e32 v53, v53                                     // 000000008D2C: 7E6A4135
	v_mfma_f32_16x16x16_f16 v[80:83], v[114:115], a[86:87], v[80:83]// 000000008D30: D3CD0050 1542AD72
	v_exp_f32_e32 v54, v54                                     // 000000008D38: 7E6C4136
	v_exp_f32_e32 v55, v55                                     // 000000008D3C: 7E6E4137
	v_mfma_f32_16x16x16_f16 v[84:87], v[108:109], a[88:89], 0  // 000000008D40: D3CD0054 1202B16C
	v_exp_f32_e32 v56, v56                                     // 000000008D48: 7E704138
	v_exp_f32_e32 v57, v57                                     // 000000008D4C: 7E724139
	v_mfma_f32_16x16x16_f16 v[84:87], v[110:111], a[90:91], v[84:87]// 000000008D50: D3CD0054 1552B56E
	ds_read_b64 v[156:157], v21 offset:31232                   // 000000008D58: D8EC7A00 9C000015
	ds_read_b64 v[158:159], v21 offset:33280                   // 000000008D60: D8EC8200 9E000015
	v_mfma_f32_16x16x16_f16 v[84:87], v[112:113], a[92:93], v[84:87]// 000000008D68: D3CD0054 1552B970
	v_exp_f32_e32 v58, v58                                     // 000000008D70: 7E74413A
	v_exp_f32_e32 v59, v59                                     // 000000008D74: 7E76413B
	v_mfma_f32_16x16x16_f16 v[84:87], v[114:115], a[94:95], v[84:87]// 000000008D78: D3CD0054 1552BD72
	ds_read_b64 v[160:161], v21 offset:35328                   // 000000008D80: D8EC8A00 A0000015
	ds_read_b64 v[162:163], v21 offset:37376                   // 000000008D88: D8EC9200 A2000015
	v_mfma_f32_16x16x16_f16 v[88:91], v[116:117], a[72:73], 0  // 000000008D90: D3CD0058 12029174
	v_exp_f32_e32 v60, v60                                     // 000000008D98: 7E78413C
	v_exp_f32_e32 v61, v61                                     // 000000008D9C: 7E7A413D
	v_mfma_f32_16x16x16_f16 v[88:91], v[118:119], a[74:75], v[88:91]// 000000008DA0: D3CD0058 15629576
	v_exp_f32_e32 v62, v62                                     // 000000008DA8: 7E7C413E
	v_exp_f32_e32 v63, v63                                     // 000000008DAC: 7E7E413F
	v_mfma_f32_16x16x16_f16 v[88:91], v[120:121], a[76:77], v[88:91]// 000000008DB0: D3CD0058 15629978
	v_exp_f32_e32 v64, v64                                     // 000000008DB8: 7E804140
	v_exp_f32_e32 v65, v65                                     // 000000008DBC: 7E824141
	v_mfma_f32_16x16x16_f16 v[88:91], v[122:123], a[78:79], v[88:91]// 000000008DC0: D3CD0058 15629D7A
	v_exp_f32_e32 v66, v66                                     // 000000008DC8: 7E844142
	v_exp_f32_e32 v67, v67                                     // 000000008DCC: 7E864143
	v_mfma_f32_16x16x16_f16 v[92:95], v[116:117], a[80:81], 0  // 000000008DD0: D3CD005C 1202A174
	v_exp_f32_e32 v68, v68                                     // 000000008DD8: 7E884144
	v_exp_f32_e32 v69, v69                                     // 000000008DDC: 7E8A4145
	v_mfma_f32_16x16x16_f16 v[92:95], v[118:119], a[82:83], v[92:95]// 000000008DE0: D3CD005C 1572A576
	v_exp_f32_e32 v70, v70                                     // 000000008DE8: 7E8C4146
	v_exp_f32_e32 v71, v71                                     // 000000008DEC: 7E8E4147
	v_mfma_f32_16x16x16_f16 v[92:95], v[120:121], a[84:85], v[92:95]// 000000008DF0: D3CD005C 1572A978
	v_exp_f32_e32 v72, v72                                     // 000000008DF8: 7E904148
	v_exp_f32_e32 v73, v73                                     // 000000008DFC: 7E924149
	v_mfma_f32_16x16x16_f16 v[92:95], v[122:123], a[86:87], v[92:95]// 000000008E00: D3CD005C 1572AD7A
	v_exp_f32_e32 v74, v74                                     // 000000008E08: 7E94414A
	v_exp_f32_e32 v75, v75                                     // 000000008E0C: 7E96414B
	v_mfma_f32_16x16x16_f16 v[96:99], v[116:117], a[88:89], 0  // 000000008E10: D3CD0060 1202B174
	v_cvt_pkrtz_f16_f32 v164, v52, v53                         // 000000008E18: D29600A4 00026B34
	v_cvt_pkrtz_f16_f32 v165, v54, v55                         // 000000008E20: D29600A5 00026F36
	v_cvt_pkrtz_f16_f32 v166, v56, v57                         // 000000008E28: D29600A6 00027338
	v_cvt_pkrtz_f16_f32 v167, v58, v59                         // 000000008E30: D29600A7 0002773A
	v_cvt_pkrtz_f16_f32 v168, v60, v61                         // 000000008E38: D29600A8 00027B3C
	v_cvt_pkrtz_f16_f32 v169, v62, v63                         // 000000008E40: D29600A9 00027F3E
	v_mfma_f32_16x16x16_f16 v[96:99], v[118:119], a[90:91], v[96:99]// 000000008E48: D3CD0060 1582B576
	v_cvt_pkrtz_f16_f32 v170, v64, v65                         // 000000008E50: D29600AA 00028340
	v_cvt_pkrtz_f16_f32 v171, v66, v67                         // 000000008E58: D29600AB 00028742
	v_cvt_pkrtz_f16_f32 v172, v68, v69                         // 000000008E60: D29600AC 00028B44
	v_cvt_pkrtz_f16_f32 v173, v70, v71                         // 000000008E68: D29600AD 00028F46
	v_cvt_pkrtz_f16_f32 v174, v72, v73                         // 000000008E70: D29600AE 00029348
	v_cvt_pkrtz_f16_f32 v175, v74, v75                         // 000000008E78: D29600AF 0002974A
	v_mfma_f32_16x16x16_f16 v[96:99], v[120:121], a[92:93], v[96:99]// 000000008E80: D3CD0060 1582B978
	v_add_u32_e32 v6, s66, v6                                  // 000000008E88: 680C0C42
	v_add_u32_e32 v7, s66, v7                                  // 000000008E8C: 680E0E42
	v_add_u32_e32 v8, s66, v8                                  // 000000008E90: 68101042
	v_add_u32_e32 v9, s66, v9                                  // 000000008E94: 68121242
	v_mfma_f32_16x16x16_f16 v[96:99], v[122:123], a[94:95], v[96:99]// 000000008E98: D3CD0060 1582BD7A
	s_waitcnt lgkmcnt(0)                                       // 000000008EA0: BF8CC07F
	s_barrier                                                  // 000000008EA4: BF8A0000
	v_mfma_f32_16x16x16_f16 v[180:183], v[124:125], v[164:165], v[180:183]// 000000008EA8: D3CD00B4 06D3497C
	v_subrev_f32_dpp v76, v176, v76 quad_perm:[0,0,0,0] row_mask:0xf bank_mask:0xf// 000000008EB0: 069898FA FF0000B0
	v_subrev_f32_dpp v77, v176, v77 quad_perm:[1,1,1,1] row_mask:0xf bank_mask:0xf// 000000008EB8: 069A9AFA FF0055B0
	v_subrev_f32_dpp v78, v176, v78 quad_perm:[2,2,2,2] row_mask:0xf bank_mask:0xf// 000000008EC0: 069C9CFA FF00AAB0
	v_subrev_f32_dpp v79, v176, v79 quad_perm:[3,3,3,3] row_mask:0xf bank_mask:0xf// 000000008EC8: 069E9EFA FF00FFB0
	v_subrev_f32_dpp v80, v176, v80 quad_perm:[0,0,0,0] row_mask:0xf bank_mask:0xf// 000000008ED0: 06A0A0FA FF0000B0
	v_subrev_f32_dpp v81, v176, v81 quad_perm:[1,1,1,1] row_mask:0xf bank_mask:0xf// 000000008ED8: 06A2A2FA FF0055B0
	v_mfma_f32_16x16x16_f16 v[184:187], v[126:127], v[164:165], v[184:187]// 000000008EE0: D3CD00B8 06E3497E
	v_subrev_f32_dpp v82, v176, v82 quad_perm:[2,2,2,2] row_mask:0xf bank_mask:0xf// 000000008EE8: 06A4A4FA FF00AAB0
	v_subrev_f32_dpp v83, v176, v83 quad_perm:[3,3,3,3] row_mask:0xf bank_mask:0xf// 000000008EF0: 06A6A6FA FF00FFB0
	v_subrev_f32_dpp v84, v176, v84 quad_perm:[0,0,0,0] row_mask:0xf bank_mask:0xf// 000000008EF8: 06A8A8FA FF0000B0
	v_subrev_f32_dpp v85, v176, v85 quad_perm:[1,1,1,1] row_mask:0xf bank_mask:0xf// 000000008F00: 06AAAAFA FF0055B0
	v_subrev_f32_dpp v86, v176, v86 quad_perm:[2,2,2,2] row_mask:0xf bank_mask:0xf// 000000008F08: 06ACACFA FF00AAB0
	v_subrev_f32_dpp v87, v176, v87 quad_perm:[3,3,3,3] row_mask:0xf bank_mask:0xf// 000000008F10: 06AEAEFA FF00FFB0
	v_mfma_f32_16x16x16_f16 v[188:191], v[128:129], v[164:165], v[188:191]// 000000008F18: D3CD00BC 06F34980
	v_mul_f32_e32 v76, v52, v76                                // 000000008F20: 0A989934
	v_mul_f32_e32 v77, v53, v77                                // 000000008F24: 0A9A9B35
	v_mul_f32_e32 v78, v54, v78                                // 000000008F28: 0A9C9D36
	v_mul_f32_e32 v79, v55, v79                                // 000000008F2C: 0A9E9F37
	v_mul_f32_e32 v80, v56, v80                                // 000000008F30: 0AA0A138
	v_mul_f32_e32 v81, v57, v81                                // 000000008F34: 0AA2A339
	v_mfma_f32_16x16x16_f16 v[192:195], v[130:131], v[164:165], v[192:195]// 000000008F38: D3CD00C0 07034982
	v_mul_f32_e32 v82, v58, v82                                // 000000008F40: 0AA4A53A
	v_mul_f32_e32 v83, v59, v83                                // 000000008F44: 0AA6A73B
	v_mul_f32_e32 v84, v60, v84                                // 000000008F48: 0AA8A93C
	v_mul_f32_e32 v85, v61, v85                                // 000000008F4C: 0AAAAB3D
	v_mul_f32_e32 v86, v62, v86                                // 000000008F50: 0AACAD3E
	v_mul_f32_e32 v87, v63, v87                                // 000000008F54: 0AAEAF3F
	v_mfma_f32_16x16x16_f16 v[196:199], v[124:125], v[166:167], v[196:199]// 000000008F58: D3CD00C4 07134D7C
	v_cvt_pkrtz_f16_f32 v76, v76, v77                          // 000000008F60: D296004C 00029B4C
	v_cvt_pkrtz_f16_f32 v77, v78, v79                          // 000000008F68: D296004D 00029F4E
	v_cvt_pkrtz_f16_f32 v78, v80, v81                          // 000000008F70: D296004E 0002A350
	v_cvt_pkrtz_f16_f32 v79, v82, v83                          // 000000008F78: D296004F 0002A752
	v_cvt_pkrtz_f16_f32 v80, v84, v85                          // 000000008F80: D2960050 0002AB54
	v_cvt_pkrtz_f16_f32 v81, v86, v87                          // 000000008F88: D2960051 0002AF56
	v_mfma_f32_16x16x16_f16 v[200:203], v[126:127], v[166:167], v[200:203]// 000000008F90: D3CD00C8 07234D7E
	v_mov_b32_dpp v18, v76 quad_perm:[1,0,3,2] row_mask:0xf bank_mask:0xf// 000000008F98: 7E2402FA FF00B14C
	v_perm_b32 v52, v18, v76, v17                              // 000000008FA0: D1ED0034 04469912
	v_mov_b32_dpp v18, v77 quad_perm:[1,0,3,2] row_mask:0xf bank_mask:0xf// 000000008FA8: 7E2402FA FF00B14D
	v_perm_b32 v53, v18, v77, v17                              // 000000008FB0: D1ED0035 04469B12
	v_mov_b32_dpp v18, v78 quad_perm:[1,0,3,2] row_mask:0xf bank_mask:0xf// 000000008FB8: 7E2402FA FF00B14E
	v_perm_b32 v54, v18, v78, v17                              // 000000008FC0: D1ED0036 04469D12
	v_mfma_f32_16x16x16_f16 v[204:207], v[128:129], v[166:167], v[204:207]// 000000008FC8: D3CD00CC 07334D80
	ds_write_b32 v20, v52 offset:17408                         // 000000008FD0: D81A4400 00003414
	ds_write_b32 v20, v53 offset:17952                         // 000000008FD8: D81A4620 00003514
	v_mfma_f32_16x16x16_f16 v[208:211], v[130:131], v[166:167], v[208:211]// 000000008FE0: D3CD00D0 07434D82
	v_mov_b32_dpp v18, v79 quad_perm:[1,0,3,2] row_mask:0xf bank_mask:0xf// 000000008FE8: 7E2402FA FF00B14F
	v_perm_b32 v55, v18, v79, v17                              // 000000008FF0: D1ED0037 04469F12
	v_mov_b32_dpp v18, v80 quad_perm:[1,0,3,2] row_mask:0xf bank_mask:0xf// 000000008FF8: 7E2402FA FF00B150
	v_perm_b32 v56, v18, v80, v17                              // 000000009000: D1ED0038 0446A112
	v_mov_b32_dpp v18, v81 quad_perm:[1,0,3,2] row_mask:0xf bank_mask:0xf// 000000009008: 7E2402FA FF00B151
	v_perm_b32 v57, v18, v81, v17                              // 000000009010: D1ED0039 0446A312
	v_mfma_f32_16x16x16_f16 v[212:215], v[124:125], v[168:169], v[212:215]// 000000009018: D3CD00D4 0753517C
	ds_write_b32 v20, v54 offset:19712                         // 000000009020: D81A4D00 00003614
	ds_write_b32 v20, v55 offset:20256                         // 000000009028: D81A4F20 00003714
	v_mfma_f32_16x16x16_f16 v[216:219], v[126:127], v[168:169], v[216:219]// 000000009030: D3CD00D8 0763517E
	v_subrev_f32_dpp v88, v177, v88 quad_perm:[0,0,0,0] row_mask:0xf bank_mask:0xf// 000000009038: 06B0B0FA FF0000B1
	v_subrev_f32_dpp v89, v177, v89 quad_perm:[1,1,1,1] row_mask:0xf bank_mask:0xf// 000000009040: 06B2B2FA FF0055B1
	v_subrev_f32_dpp v90, v177, v90 quad_perm:[2,2,2,2] row_mask:0xf bank_mask:0xf// 000000009048: 06B4B4FA FF00AAB1
	v_subrev_f32_dpp v91, v177, v91 quad_perm:[3,3,3,3] row_mask:0xf bank_mask:0xf// 000000009050: 06B6B6FA FF00FFB1
	v_subrev_f32_dpp v92, v177, v92 quad_perm:[0,0,0,0] row_mask:0xf bank_mask:0xf// 000000009058: 06B8B8FA FF0000B1
	v_subrev_f32_dpp v93, v177, v93 quad_perm:[1,1,1,1] row_mask:0xf bank_mask:0xf// 000000009060: 06BABAFA FF0055B1
	v_mfma_f32_16x16x16_f16 v[220:223], v[128:129], v[168:169], v[220:223]// 000000009068: D3CD00DC 07735180
	ds_write_b32 v20, v56 offset:22016                         // 000000009070: D81A5600 00003814
	ds_write_b32 v20, v57 offset:22560                         // 000000009078: D81A5820 00003914
	v_mfma_f32_16x16x16_f16 v[224:227], v[130:131], v[168:169], v[224:227]// 000000009080: D3CD00E0 07835182
	v_subrev_f32_dpp v94, v177, v94 quad_perm:[2,2,2,2] row_mask:0xf bank_mask:0xf// 000000009088: 06BCBCFA FF00AAB1
	v_subrev_f32_dpp v95, v177, v95 quad_perm:[3,3,3,3] row_mask:0xf bank_mask:0xf// 000000009090: 06BEBEFA FF00FFB1
	v_subrev_f32_dpp v96, v177, v96 quad_perm:[0,0,0,0] row_mask:0xf bank_mask:0xf// 000000009098: 06C0C0FA FF0000B1
	v_subrev_f32_dpp v97, v177, v97 quad_perm:[1,1,1,1] row_mask:0xf bank_mask:0xf// 0000000090A0: 06C2C2FA FF0055B1
	v_subrev_f32_dpp v98, v177, v98 quad_perm:[2,2,2,2] row_mask:0xf bank_mask:0xf// 0000000090A8: 06C4C4FA FF00AAB1
	v_subrev_f32_dpp v99, v177, v99 quad_perm:[3,3,3,3] row_mask:0xf bank_mask:0xf// 0000000090B0: 06C6C6FA FF00FFB1
	v_mfma_f32_16x16x16_f16 v[180:183], v[132:133], v[170:171], v[180:183]// 0000000090B8: D3CD00B4 06D35584
	v_mul_f32_e32 v88, v64, v88                                // 0000000090C0: 0AB0B140
	v_mul_f32_e32 v89, v65, v89                                // 0000000090C4: 0AB2B341
	v_mul_f32_e32 v90, v66, v90                                // 0000000090C8: 0AB4B542
	v_mul_f32_e32 v91, v67, v91                                // 0000000090CC: 0AB6B743
	v_mul_f32_e32 v92, v68, v92                                // 0000000090D0: 0AB8B944
	v_mul_f32_e32 v93, v69, v93                                // 0000000090D4: 0ABABB45
	v_mfma_f32_16x16x16_f16 v[184:187], v[134:135], v[170:171], v[184:187]// 0000000090D8: D3CD00B8 06E35586
	v_mul_f32_e32 v94, v70, v94                                // 0000000090E0: 0ABCBD46
	v_mul_f32_e32 v95, v71, v95                                // 0000000090E4: 0ABEBF47
	v_mul_f32_e32 v96, v72, v96                                // 0000000090E8: 0AC0C148
	v_mul_f32_e32 v97, v73, v97                                // 0000000090EC: 0AC2C349
	v_mul_f32_e32 v98, v74, v98                                // 0000000090F0: 0AC4C54A
	v_mul_f32_e32 v99, v75, v99                                // 0000000090F4: 0AC6C74B
	v_mfma_f32_16x16x16_f16 v[188:191], v[136:137], v[170:171], v[188:191]// 0000000090F8: D3CD00BC 06F35588
	v_cvt_pkrtz_f16_f32 v82, v88, v89                          // 000000009100: D2960052 0002B358
	v_cvt_pkrtz_f16_f32 v83, v90, v91                          // 000000009108: D2960053 0002B75A
	v_cvt_pkrtz_f16_f32 v84, v92, v93                          // 000000009110: D2960054 0002BB5C
	v_cvt_pkrtz_f16_f32 v85, v94, v95                          // 000000009118: D2960055 0002BF5E
	v_cvt_pkrtz_f16_f32 v86, v96, v97                          // 000000009120: D2960056 0002C360
	v_cvt_pkrtz_f16_f32 v87, v98, v99                          // 000000009128: D2960057 0002C762
	v_mfma_f32_16x16x16_f16 v[192:195], v[138:139], v[170:171], v[192:195]// 000000009130: D3CD00C0 0703558A
	v_mov_b32_dpp v18, v82 quad_perm:[1,0,3,2] row_mask:0xf bank_mask:0xf// 000000009138: 7E2402FA FF00B152
	v_perm_b32 v58, v18, v82, v17                              // 000000009140: D1ED003A 0446A512
	v_mov_b32_dpp v18, v83 quad_perm:[1,0,3,2] row_mask:0xf bank_mask:0xf// 000000009148: 7E2402FA FF00B153
	v_perm_b32 v59, v18, v83, v17                              // 000000009150: D1ED003B 0446A712
	v_mov_b32_dpp v18, v84 quad_perm:[1,0,3,2] row_mask:0xf bank_mask:0xf// 000000009158: 7E2402FA FF00B154
	v_perm_b32 v60, v18, v84, v17                              // 000000009160: D1ED003C 0446A912
	v_mfma_f32_16x16x16_f16 v[196:199], v[132:133], v[172:173], v[196:199]// 000000009168: D3CD00C4 07135984
	ds_write_b32 v20, v58 offset:24320                         // 000000009170: D81A5F00 00003A14
	ds_write_b32 v20, v59 offset:24864                         // 000000009178: D81A6120 00003B14
	v_mfma_f32_16x16x16_f16 v[200:203], v[134:135], v[172:173], v[200:203]// 000000009180: D3CD00C8 07235986
	v_mov_b32_dpp v18, v85 quad_perm:[1,0,3,2] row_mask:0xf bank_mask:0xf// 000000009188: 7E2402FA FF00B155
	v_perm_b32 v61, v18, v85, v17                              // 000000009190: D1ED003D 0446AB12
	v_mov_b32_dpp v18, v86 quad_perm:[1,0,3,2] row_mask:0xf bank_mask:0xf// 000000009198: 7E2402FA FF00B156
	v_perm_b32 v62, v18, v86, v17                              // 0000000091A0: D1ED003E 0446AD12
	v_mov_b32_dpp v18, v87 quad_perm:[1,0,3,2] row_mask:0xf bank_mask:0xf// 0000000091A8: 7E2402FA FF00B157
	v_perm_b32 v63, v18, v87, v17                              // 0000000091B0: D1ED003F 0446AF12
	v_mfma_f32_16x16x16_f16 v[204:207], v[136:137], v[172:173], v[204:207]// 0000000091B8: D3CD00CC 07335988
	ds_write_b32 v20, v60 offset:26624                         // 0000000091C0: D81A6800 00003C14
	ds_write_b32 v20, v61 offset:27168                         // 0000000091C8: D81A6A20 00003D14
	ds_write_b32 v20, v62 offset:28928                         // 0000000091D0: D81A7100 00003E14
	ds_write_b32 v20, v63 offset:29472                         // 0000000091D8: D81A7320 00003F14
	v_mfma_f32_16x16x16_f16 v[208:211], v[138:139], v[172:173], v[208:211]// 0000000091E0: D3CD00D0 0743598A
	v_mfma_f32_16x16x16_f16 v[212:215], v[132:133], v[174:175], v[212:215]// 0000000091E8: D3CD00D4 07535D84
	ds_write_b32 v15, v100 offset:4352                         // 0000000091F0: D81A1100 0000640F
	ds_write_b32 v15, v101 offset:5408                         // 0000000091F8: D81A1520 0000650F
	v_mfma_f32_16x16x16_f16 v[216:219], v[134:135], v[174:175], v[216:219]// 000000009200: D3CD00D8 07635D86
	v_mfma_f32_16x16x16_f16 v[220:223], v[136:137], v[174:175], v[220:223]// 000000009208: D3CD00DC 07735D88
	ds_write_b32 v15, v102 offset:6528                         // 000000009210: D81A1980 0000660F
	ds_write_b32 v15, v103 offset:7584                         // 000000009218: D81A1DA0 0000670F
	v_mfma_f32_16x16x16_f16 v[224:227], v[138:139], v[174:175], v[224:227]// 000000009220: D3CD00E0 07835D8A
	s_nop 0                                                    // 000000009228: BF800000
	s_nop 0                                                    // 00000000922C: BF800000
	s_nop 0                                                    // 000000009230: BF800000
	s_barrier                                                  // 000000009234: BF8A0000
	v_mfma_f32_16x16x16_f16 a[112:115], a[96:97], v[76:77], a[112:115]// 000000009238: D3CD8070 0DC29960
	ds_read_b32 v140, v23 offset:39424                         // 000000009240: D86C9A00 8C000017
	ds_read_b32 v144, v23 offset:39488                         // 000000009248: D86C9A40 90000017
	ds_read_b32 v176, v23 offset:39680                         // 000000009250: D86C9B00 B0000017
	ds_read_b32 v177, v23 offset:39744                         // 000000009258: D86C9B40 B1000017
	v_mfma_f32_16x16x16_f16 a[116:119], a[98:99], v[76:77], a[116:119]// 000000009260: D3CD8074 0DD29962
	buffer_atomic_add_f32 v156, v6, s[32:35], 0 idxen          // 000000009268: E1342000 80089C06
	v_mfma_f32_16x16x16_f16 a[120:123], a[100:101], v[76:77], a[120:123]// 000000009270: D3CD8078 0DE29964
	s_waitcnt lgkmcnt(8)                                       // 000000009278: BF8CC87F
	s_barrier                                                  // 00000000927C: BF8A0000
	v_mfma_f32_16x16x16_f16 a[124:127], a[102:103], v[76:77], a[124:127]// 000000009280: D3CD807C 0DF29966
	v_mfma_f32_16x16x16_f16 a[128:131], a[96:97], v[78:79], a[128:131]// 000000009288: D3CD8080 0E029D60
	ds_read_b128 v[52:55], v19 offset:17408                    // 000000009290: D9FE4400 34000013
	v_mfma_f32_16x16x16_f16 a[132:135], a[98:99], v[78:79], a[132:135]// 000000009298: D3CD8084 0E129D62
	v_mfma_f32_16x16x16_f16 a[136:139], a[100:101], v[78:79], a[136:139]// 0000000092A0: D3CD8088 0E229D64
	ds_read_b128 v[56:59], v19 offset:18560                    // 0000000092A8: D9FE4880 38000013
	v_mfma_f32_16x16x16_f16 a[140:143], a[102:103], v[78:79], a[140:143]// 0000000092B0: D3CD808C 0E329D66
	buffer_atomic_add_f32 v157, v7, s[32:35], 0 idxen          // 0000000092B8: E1342000 80089D07
	v_mfma_f32_16x16x16_f16 a[144:147], a[96:97], v[80:81], a[144:147]// 0000000092C0: D3CD8090 0E42A160
	ds_read_b128 v[60:63], v19 offset:19712                    // 0000000092C8: D9FE4D00 3C000013
	v_mfma_f32_16x16x16_f16 a[148:151], a[98:99], v[80:81], a[148:151]// 0000000092D0: D3CD8094 0E52A162
	v_mfma_f32_16x16x16_f16 a[152:155], a[100:101], v[80:81], a[152:155]// 0000000092D8: D3CD8098 0E62A164
	ds_read_b128 v[64:67], v19 offset:20864                    // 0000000092E0: D9FE5180 40000013
	v_mfma_f32_16x16x16_f16 a[156:159], a[102:103], v[80:81], a[156:159]// 0000000092E8: D3CD809C 0E72A166
	v_mfma_f32_16x16x16_f16 a[112:115], a[104:105], v[82:83], a[112:115]// 0000000092F0: D3CD8070 0DC2A568
	ds_read_b128 v[68:71], v19 offset:22016                    // 0000000092F8: D9FE5600 44000013
	v_mfma_f32_16x16x16_f16 a[116:119], a[106:107], v[82:83], a[116:119]// 000000009300: D3CD8074 0DD2A56A
	buffer_atomic_add_f32 v158, v6, s[32:35], 0 idxen offset:128// 000000009308: E1342080 80089E06
	v_mfma_f32_16x16x16_f16 a[120:123], a[108:109], v[82:83], a[120:123]// 000000009310: D3CD8078 0DE2A56C
	ds_read_b128 v[72:75], v19 offset:23168                    // 000000009318: D9FE5A80 48000013
	v_mfma_f32_16x16x16_f16 a[124:127], a[110:111], v[82:83], a[124:127]// 000000009320: D3CD807C 0DF2A56E
	v_mfma_f32_16x16x16_f16 a[128:131], a[104:105], v[84:85], a[128:131]// 000000009328: D3CD8080 0E02A968
	ds_write_b32 v15, v104 offset:13056                        // 000000009330: D81A3300 0000680F
	v_mfma_f32_16x16x16_f16 a[132:135], a[106:107], v[84:85], a[132:135]// 000000009338: D3CD8084 0E12A96A
	v_mfma_f32_16x16x16_f16 a[136:139], a[108:109], v[84:85], a[136:139]// 000000009340: D3CD8088 0E22A96C
	ds_write_b32 v15, v105 offset:14112                        // 000000009348: D81A3720 0000690F
	v_mfma_f32_16x16x16_f16 a[140:143], a[110:111], v[84:85], a[140:143]// 000000009350: D3CD808C 0E32A96E
	buffer_atomic_add_f32 v159, v7, s[32:35], 0 idxen offset:128// 000000009358: E1342080 80089F07
	v_mfma_f32_16x16x16_f16 a[144:147], a[104:105], v[86:87], a[144:147]// 000000009360: D3CD8090 0E42AD68
	ds_write_b32 v15, v106 offset:15232                        // 000000009368: D81A3B80 00006A0F
	v_mfma_f32_16x16x16_f16 a[148:151], a[106:107], v[86:87], a[148:151]// 000000009370: D3CD8094 0E52AD6A
	v_mfma_f32_16x16x16_f16 a[152:155], a[108:109], v[86:87], a[152:155]// 000000009378: D3CD8098 0E62AD6C
	ds_write_b32 v15, v107 offset:16288                        // 000000009380: D81A3FA0 00006B0F
	v_mfma_f32_16x16x16_f16 a[156:159], a[110:111], v[86:87], a[156:159]// 000000009388: D3CD809C 0E72AD6E
	s_waitcnt vmcnt(8) lgkmcnt(4)                              // 000000009390: BF8C0478
	s_barrier                                                  // 000000009394: BF8A0000
	v_mfma_f32_16x16x16_f16 v[148:151], v[52:53], a[24:25], 0  // 000000009398: D3CD0094 12023134
	ds_read_b128 a[96:99], v12                                 // 0000000093A0: DBFE0000 6000000C
	buffer_load_dword v36, v1, s[8:11], 0 idxen                // 0000000093A8: E0502000 80022401
	v_mfma_f32_16x16x16_f16 v[148:151], v[54:55], a[28:29], v[148:151]// 0000000093B0: D3CD0094 16523936
	v_mul_f32_e32 v140, s48, v140                              // 0000000093B8: 0B191830
	v_mul_f32_e32 v144, s48, v144                              // 0000000093BC: 0B212030
	s_nop 0                                                    // 0000000093C0: BF800000
	v_mfma_f32_16x16x16_f16 v[148:151], v[56:57], a[32:33], v[148:151]// 0000000093C4: D3CD0094 16524138
	ds_read_b128 a[100:103], v12 offset:512                    // 0000000093CC: DBFE0200 6400000C
	buffer_load_dword v37, v2, s[8:11], 0 idxen                // 0000000093D4: E0502000 80022502
	v_mfma_f32_16x16x16_f16 v[148:151], v[58:59], a[36:37], v[148:151]// 0000000093DC: D3CD0094 1652493A
	v_mfma_f32_16x16x16_f16 v[148:151], v[60:61], a[40:41], v[148:151]// 0000000093E4: D3CD0094 1652513C
	ds_read_b128 a[104:107], v12 offset:2176                   // 0000000093EC: DBFE0880 6800000C
	buffer_load_dword v38, v3, s[8:11], 0 idxen                // 0000000093F4: E0502000 80022603
	v_mfma_f32_16x16x16_f16 v[148:151], v[62:63], a[44:45], v[148:151]// 0000000093FC: D3CD0094 1652593E
	v_perm_b32 v100, v41, v40, s63                             // 000000009404: D1ED0064 00FE5129
	v_perm_b32 v101, v41, v40, s64                             // 00000000940C: D1ED0065 01025129
	v_mfma_f32_16x16x16_f16 v[148:151], v[64:65], a[48:49], v[148:151]// 000000009414: D3CD0094 16526140
	ds_read_b128 a[108:111], v12 offset:2688                   // 00000000941C: DBFE0A80 6C00000C
	buffer_load_dword v39, v4, s[8:11], 0 idxen                // 000000009424: E0502000 80022704
	v_mfma_f32_16x16x16_f16 v[148:151], v[66:67], a[52:53], v[148:151]// 00000000942C: D3CD0094 16526942
	v_perm_b32 v102, v43, v42, s63                             // 000000009434: D1ED0066 00FE552B
	v_perm_b32 v103, v43, v42, s64                             // 00000000943C: D1ED0067 0102552B
	v_mfma_f32_16x16x16_f16 v[148:151], v[68:69], a[56:57], v[148:151]// 000000009444: D3CD0094 16527144
	ds_read_b128 v[108:111], v12 offset:8704                   // 00000000944C: D9FE2200 6C00000C
	buffer_load_dword v44, v228, s[20:23], 0 idxen             // 000000009454: E0502000 80052CE4
	v_mfma_f32_16x16x16_f16 v[148:151], v[70:71], a[60:61], v[148:151]// 00000000945C: D3CD0094 16527946
	v_perm_b32 v104, v49, v48, s63                             // 000000009464: D1ED0068 00FE6131
	v_perm_b32 v105, v49, v48, s64                             // 00000000946C: D1ED0069 01026131
	v_mfma_f32_16x16x16_f16 v[148:151], v[72:73], a[64:65], v[148:151]// 000000009474: D3CD0094 16528148
	ds_read_b128 v[112:115], v12 offset:9216                   // 00000000947C: D9FE2400 7000000C
	buffer_load_dword v45, v229, s[20:23], 0 idxen             // 000000009484: E0502000 80052DE5
	v_mfma_f32_16x16x16_f16 v[148:151], v[74:75], a[68:69], v[148:151]// 00000000948C: D3CD0094 1652894A
	v_perm_b32 v106, v51, v50, s63                             // 000000009494: D1ED006A 00FE6533
	v_perm_b32 v107, v51, v50, s64                             // 00000000949C: D1ED006B 01026533
	v_mfma_f32_16x16x16_f16 v[152:155], v[52:53], a[26:27], 0  // 0000000094A4: D3CD0098 12023534
	ds_read_b128 v[116:119], v12 offset:10880                  // 0000000094AC: D9FE2A80 7400000C
	buffer_load_dword v46, v230, s[20:23], 0 idxen             // 0000000094B4: E0502000 80052EE6
	v_mfma_f32_16x16x16_f16 v[152:155], v[54:55], a[30:31], v[152:155]// 0000000094BC: D3CD0098 16623D36
	v_mov_b32_dpp v143, v140 quad_perm:[3,3,3,3] row_mask:0xf bank_mask:0xf// 0000000094C4: 7F1E02FA FF00FF8C
	v_mov_b32_dpp v142, v140 quad_perm:[2,2,2,2] row_mask:0xf bank_mask:0xf// 0000000094CC: 7F1C02FA FF00AA8C
	v_mov_b32_dpp v141, v140 quad_perm:[1,1,1,1] row_mask:0xf bank_mask:0xf// 0000000094D4: 7F1A02FA FF00558C
	v_mov_b32_dpp v140, v140 quad_perm:[0,0,0,0] row_mask:0xf bank_mask:0xf// 0000000094DC: 7F1802FA FF00008C
	v_mfma_f32_16x16x16_f16 v[152:155], v[56:57], a[34:35], v[152:155]// 0000000094E4: D3CD0098 16624538
	ds_read_b128 v[120:123], v12 offset:11392                  // 0000000094EC: D9FE2C80 7800000C
	buffer_load_dword v47, v231, s[20:23], 0 idxen             // 0000000094F4: E0502000 80052FE7
	v_mfma_f32_16x16x16_f16 v[152:155], v[58:59], a[38:39], v[152:155]// 0000000094FC: D3CD0098 16624D3A
	v_mov_b32_dpp v147, v144 quad_perm:[3,3,3,3] row_mask:0xf bank_mask:0xf// 000000009504: 7F2602FA FF00FF90
	v_mov_b32_dpp v146, v144 quad_perm:[2,2,2,2] row_mask:0xf bank_mask:0xf// 00000000950C: 7F2402FA FF00AA90
	v_mov_b32_dpp v145, v144 quad_perm:[1,1,1,1] row_mask:0xf bank_mask:0xf// 000000009514: 7F2202FA FF005590
	v_mov_b32_dpp v144, v144 quad_perm:[0,0,0,0] row_mask:0xf bank_mask:0xf// 00000000951C: 7F2002FA FF000090
	s_add_u32 s60, 0x80, s59                                   // 000000009524: 803C3BFF 00000080
	v_mfma_f32_16x16x16_f16 v[152:155], v[60:61], a[42:43], v[152:155]// 00000000952C: D3CD0098 1662553C
	buffer_load_dword v11, s[24:27], 0 idxen lds               // 000000009534: E0512000 8006000B
	v_mfma_f32_16x16x16_f16 v[152:155], v[62:63], a[46:47], v[152:155]// 00000000953C: D3CD0098 16625D3E
	s_cmp_lt_u32 s60, s58                                      // 000000009544: BF0A3A3C
	s_cselect_b32 s68, s68, 0                                  // 000000009548: 85448044
	s_cselect_b32 s99, s99, 0                                  // 00000000954C: 85638063
	s_cselect_b32 s69, s69, 0                                  // 000000009550: 85458045
	v_mfma_f32_16x16x16_f16 v[152:155], v[64:65], a[50:51], v[152:155]// 000000009554: D3CD0098 16626540
	v_add_u32_e32 v1, s68, v1                                  // 00000000955C: 68020244
	v_add_u32_e32 v2, s68, v2                                  // 000000009560: 68040444
	v_add_u32_e32 v3, s68, v3                                  // 000000009564: 68060644
	;; [unrolled: 1-line block ×3, first 2 shown]
	v_mfma_f32_16x16x16_f16 v[152:155], v[66:67], a[54:55], v[152:155]// 00000000956C: D3CD0098 16626D42
	v_add_u32_e32 v228, s99, v228                              // 000000009574: 69C9C863
	v_add_u32_e32 v229, s99, v229                              // 000000009578: 69CBCA63
	v_add_u32_e32 v230, s99, v230                              // 00000000957C: 69CDCC63
	v_add_u32_e32 v231, s99, v231                              // 000000009580: 69CFCE63
	v_mfma_f32_16x16x16_f16 v[152:155], v[68:69], a[58:59], v[152:155]// 000000009584: D3CD0098 16627544
	s_mov_b32 m0, s79                                          // 00000000958C: BEFC004F
	v_add_u32_e32 v11, s69, v11                                // 000000009590: 68161645
	v_mfma_f32_16x16x16_f16 v[152:155], v[70:71], a[62:63], v[152:155]// 000000009594: D3CD0098 16627D46
	s_cmp_ge_u32 s59, s73                                      // 00000000959C: BF09493B
	s_cselect_b32 s66, s67, s66                                // 0000000095A0: 85424243
	v_mfma_f32_16x16x16_f16 v[152:155], v[72:73], a[66:67], v[152:155]// 0000000095A4: D3CD0098 16628548
	s_addk_i32 s59, 0x20                                       // 0000000095AC: B73B0020
	s_nop 0                                                    // 0000000095B0: BF800000
	s_cmp_lt_i32 s59, s58                                      // 0000000095B4: BF043A3B
	v_mfma_f32_16x16x16_f16 v[152:155], v[74:75], a[70:71], v[152:155]// 0000000095B8: D3CD0098 16628D4A
	s_cbranch_scc0 label_0DF8                                  // 0000000095C0: BF84F875
	s_branch label_0DFB                                        // 0000000095C4: BF82F877

00000000000095c8 <label_1596>:
	buffer_atomic_add_f32 v160, v8, s[32:35], 0 idxen          // 0000000095C8: E1342000 8008A008
	buffer_atomic_add_f32 v161, v9, s[32:35], 0 idxen          // 0000000095D0: E1342000 8008A109
	buffer_atomic_add_f32 v162, v8, s[32:35], 0 idxen offset:128// 0000000095D8: E1342080 8008A208
	buffer_atomic_add_f32 v163, v9, s[32:35], 0 idxen offset:128// 0000000095E0: E1342080 8008A309
	v_add_u32_e32 v6, s66, v6                                  // 0000000095E8: 680C0C42
	v_add_u32_e32 v7, s66, v7                                  // 0000000095EC: 680E0E42
	v_add_u32_e32 v8, s66, v8                                  // 0000000095F0: 68101042
	v_add_u32_e32 v9, s66, v9                                  // 0000000095F4: 68121242
	v_lshrrev_b32_e32 v32, 5, v0                               // 0000000095F8: 20400085
	v_mul_i32_i24_e32 v27, 0x44, v32                           // 0000000095FC: 0C3640FF 00000044
	v_and_b32_e32 v32, 31, v0                                  // 000000009604: 2640009F
	v_mul_i32_i24_e32 v33, 2, v32                              // 000000009608: 0C424082
	v_add_u32_e32 v27, v33, v27                                // 00000000960C: 68363721
	s_mul_i32 s60, s46, 0x220                                  // 000000009610: 923CFF2E 00000220
	v_add_u32_e32 v27, s60, v27                                // 000000009618: 6836363C
	v_lshlrev_b32_e32 v27, 2, v27                              // 00000000961C: 24363682
	v_mul_f32_e32 v148, s47, v148                              // 000000009620: 0B29282F
	v_mul_f32_e32 v149, s47, v149                              // 000000009624: 0B2B2A2F
	v_mul_f32_e32 v150, s47, v150                              // 000000009628: 0B2D2C2F
	v_mul_f32_e32 v151, s47, v151                              // 00000000962C: 0B2F2E2F
	v_mul_f32_e32 v152, s47, v152                              // 000000009630: 0B31302F
	v_mul_f32_e32 v153, s47, v153                              // 000000009634: 0B33322F
	v_mul_f32_e32 v154, s47, v154                              // 000000009638: 0B35342F
	v_mul_f32_e32 v155, s47, v155                              // 00000000963C: 0B37362F
	ds_write_b64 v22, v[148:149] offset:31232                  // 000000009640: D89A7A00 00009416
	ds_write_b64 v22, v[150:151] offset:31744                  // 000000009648: D89A7C00 00009616
	ds_write_b64 v22, v[152:153] offset:32256                  // 000000009650: D89A7E00 00009816
	ds_write_b64 v22, v[154:155] offset:32768                  // 000000009658: D89A8000 00009A16
	s_waitcnt lgkmcnt(0)                                       // 000000009660: BF8CC07F
	s_barrier                                                  // 000000009664: BF8A0000
	ds_read_b64 v[156:157], v21 offset:31232                   // 000000009668: D8EC7A00 9C000015
	ds_read_b64 v[158:159], v21 offset:33280                   // 000000009670: D8EC8200 9E000015
	ds_read_b64 v[160:161], v21 offset:35328                   // 000000009678: D8EC8A00 A0000015
	ds_read_b64 v[162:163], v21 offset:37376                   // 000000009680: D8EC9200 A2000015
	s_waitcnt lgkmcnt(0)                                       // 000000009688: BF8CC07F
	s_barrier                                                  // 00000000968C: BF8A0000
	buffer_atomic_add_f32 v156, v6, s[32:35], 0 idxen          // 000000009690: E1342000 80089C06
	buffer_atomic_add_f32 v157, v7, s[32:35], 0 idxen          // 000000009698: E1342000 80089D07
	buffer_atomic_add_f32 v158, v6, s[32:35], 0 idxen offset:128// 0000000096A0: E1342080 80089E06
	buffer_atomic_add_f32 v159, v7, s[32:35], 0 idxen offset:128// 0000000096A8: E1342080 80089F07
	buffer_atomic_add_f32 v160, v8, s[32:35], 0 idxen          // 0000000096B0: E1342000 8008A008
	buffer_atomic_add_f32 v161, v9, s[32:35], 0 idxen          // 0000000096B8: E1342000 8008A109
	buffer_atomic_add_f32 v162, v8, s[32:35], 0 idxen offset:128// 0000000096C0: E1342080 8008A208
	buffer_atomic_add_f32 v163, v9, s[32:35], 0 idxen offset:128// 0000000096C8: E1342080 8008A309
	v_lshrrev_b32_e32 v32, 3, v0                               // 0000000096D0: 20400083
	v_mul_i32_i24_e32 v26, 2, v32                              // 0000000096D4: 0C344082
	v_and_b32_e32 v32, 7, v0                                   // 0000000096D8: 26400087
	v_mul_i32_i24_e32 v33, 0x44, v32                           // 0000000096DC: 0C4240FF 00000044
	v_add_u32_e32 v26, v33, v26                                // 0000000096E4: 68343521
	s_mul_i32 s60, s46, 0x220                                  // 0000000096E8: 923CFF2E 00000220
	v_add_u32_e32 v26, s60, v26                                // 0000000096F0: 6834343C
	v_lshlrev_b32_e32 v26, 2, v26                              // 0000000096F4: 24343482
	v_accvgpr_read_b32 v32, a112                               // 0000000096F8: D3D84020 18000170
	v_accvgpr_read_b32 v33, a113                               // 000000009700: D3D84021 18000171
	v_mul_f32_e32 v32, s47, v32                                // 000000009708: 0A40402F
	v_mul_f32_e32 v33, s47, v33                                // 00000000970C: 0A42422F
	v_cvt_pkrtz_f16_f32 v52, v32, v33                          // 000000009710: D2960034 00024320
	v_accvgpr_read_b32 v32, a114                               // 000000009718: D3D84020 18000172
	v_accvgpr_read_b32 v33, a115                               // 000000009720: D3D84021 18000173
	v_mul_f32_e32 v32, s47, v32                                // 000000009728: 0A40402F
	v_mul_f32_e32 v33, s47, v33                                // 00000000972C: 0A42422F
	v_cvt_pkrtz_f16_f32 v53, v32, v33                          // 000000009730: D2960035 00024320
	v_accvgpr_read_b32 v32, a116                               // 000000009738: D3D84020 18000174
	v_accvgpr_read_b32 v33, a117                               // 000000009740: D3D84021 18000175
	v_mul_f32_e32 v32, s47, v32                                // 000000009748: 0A40402F
	v_mul_f32_e32 v33, s47, v33                                // 00000000974C: 0A42422F
	v_cvt_pkrtz_f16_f32 v54, v32, v33                          // 000000009750: D2960036 00024320
	v_accvgpr_read_b32 v32, a118                               // 000000009758: D3D84020 18000176
	v_accvgpr_read_b32 v33, a119                               // 000000009760: D3D84021 18000177
	v_mul_f32_e32 v32, s47, v32                                // 000000009768: 0A40402F
	v_mul_f32_e32 v33, s47, v33                                // 00000000976C: 0A42422F
	v_cvt_pkrtz_f16_f32 v55, v32, v33                          // 000000009770: D2960037 00024320
	v_accvgpr_read_b32 v32, a120                               // 000000009778: D3D84020 18000178
	v_accvgpr_read_b32 v33, a121                               // 000000009780: D3D84021 18000179
	v_mul_f32_e32 v32, s47, v32                                // 000000009788: 0A40402F
	v_mul_f32_e32 v33, s47, v33                                // 00000000978C: 0A42422F
	v_cvt_pkrtz_f16_f32 v56, v32, v33                          // 000000009790: D2960038 00024320
	v_accvgpr_read_b32 v32, a122                               // 000000009798: D3D84020 1800017A
	v_accvgpr_read_b32 v33, a123                               // 0000000097A0: D3D84021 1800017B
	v_mul_f32_e32 v32, s47, v32                                // 0000000097A8: 0A40402F
	v_mul_f32_e32 v33, s47, v33                                // 0000000097AC: 0A42422F
	v_cvt_pkrtz_f16_f32 v57, v32, v33                          // 0000000097B0: D2960039 00024320
	v_accvgpr_read_b32 v32, a124                               // 0000000097B8: D3D84020 1800017C
	v_accvgpr_read_b32 v33, a125                               // 0000000097C0: D3D84021 1800017D
	v_mul_f32_e32 v32, s47, v32                                // 0000000097C8: 0A40402F
	v_mul_f32_e32 v33, s47, v33                                // 0000000097CC: 0A42422F
	v_cvt_pkrtz_f16_f32 v58, v32, v33                          // 0000000097D0: D296003A 00024320
	v_accvgpr_read_b32 v32, a126                               // 0000000097D8: D3D84020 1800017E
	v_accvgpr_read_b32 v33, a127                               // 0000000097E0: D3D84021 1800017F
	v_mul_f32_e32 v32, s47, v32                                // 0000000097E8: 0A40402F
	v_mul_f32_e32 v33, s47, v33                                // 0000000097EC: 0A42422F
	v_cvt_pkrtz_f16_f32 v59, v32, v33                          // 0000000097F0: D296003B 00024320
	ds_write_b64 v27, v[52:53]                                 // 0000000097F8: D89A0000 0000341B
	ds_write_b64 v27, v[54:55] offset:544                      // 000000009800: D89A0220 0000361B
	ds_write_b64 v27, v[56:57] offset:1088                     // 000000009808: D89A0440 0000381B
	ds_write_b64 v27, v[58:59] offset:1632                     // 000000009810: D89A0660 00003A1B
	s_waitcnt lgkmcnt(0)                                       // 000000009818: BF8CC07F
	s_barrier                                                  // 00000000981C: BF8A0000
	ds_read_b64 v[52:53], v26                                  // 000000009820: D8EC0000 3400001A
	ds_read_b64 v[54:55], v26 offset:128                       // 000000009828: D8EC0080 3600001A
	ds_read_b64 v[56:57], v26 offset:64                        // 000000009830: D8EC0040 3800001A
	ds_read_b64 v[58:59], v26 offset:192                       // 000000009838: D8EC00C0 3A00001A
	s_waitcnt lgkmcnt(0)                                       // 000000009840: BF8CC07F
	s_mov_b32 s70, s52                                         // 000000009844: BEC60034
	buffer_store_dwordx4 v[52:55], v5, s[36:39], 0 idxen       // 000000009848: E07C2000 80093405
	s_mul_i32 s60, 2, s70                                      // 000000009850: 923C4682
	v_add_u32_e32 v5, s60, v5                                  // 000000009854: 680A0A3C
	buffer_store_dwordx4 v[56:59], v5, s[36:39], 0 idxen       // 000000009858: E07C2000 80093805
	s_mul_i32 s60, 2, s70                                      // 000000009860: 923C4682
	v_add_u32_e32 v5, s60, v5                                  // 000000009864: 680A0A3C
	s_mul_i32 s60, 12, s70                                     // 000000009868: 923C468C
	v_add_u32_e32 v5, s60, v5                                  // 00000000986C: 680A0A3C
	s_barrier                                                  // 000000009870: BF8A0000
	s_cmp_ge_i32 1, s72                                        // 000000009874: BF034881
	s_cbranch_scc1 label_1705                                  // 000000009878: BF8500C2
	v_accvgpr_read_b32 v32, a128                               // 00000000987C: D3D84020 18000180
	v_accvgpr_read_b32 v33, a129                               // 000000009884: D3D84021 18000181
	v_mul_f32_e32 v32, s47, v32                                // 00000000988C: 0A40402F
	v_mul_f32_e32 v33, s47, v33                                // 000000009890: 0A42422F
	v_cvt_pkrtz_f16_f32 v60, v32, v33                          // 000000009894: D296003C 00024320
	v_accvgpr_read_b32 v32, a130                               // 00000000989C: D3D84020 18000182
	v_accvgpr_read_b32 v33, a131                               // 0000000098A4: D3D84021 18000183
	v_mul_f32_e32 v32, s47, v32                                // 0000000098AC: 0A40402F
	v_mul_f32_e32 v33, s47, v33                                // 0000000098B0: 0A42422F
	v_cvt_pkrtz_f16_f32 v61, v32, v33                          // 0000000098B4: D296003D 00024320
	v_accvgpr_read_b32 v32, a132                               // 0000000098BC: D3D84020 18000184
	v_accvgpr_read_b32 v33, a133                               // 0000000098C4: D3D84021 18000185
	v_mul_f32_e32 v32, s47, v32                                // 0000000098CC: 0A40402F
	v_mul_f32_e32 v33, s47, v33                                // 0000000098D0: 0A42422F
	v_cvt_pkrtz_f16_f32 v62, v32, v33                          // 0000000098D4: D296003E 00024320
	v_accvgpr_read_b32 v32, a134                               // 0000000098DC: D3D84020 18000186
	v_accvgpr_read_b32 v33, a135                               // 0000000098E4: D3D84021 18000187
	v_mul_f32_e32 v32, s47, v32                                // 0000000098EC: 0A40402F
	v_mul_f32_e32 v33, s47, v33                                // 0000000098F0: 0A42422F
	v_cvt_pkrtz_f16_f32 v63, v32, v33                          // 0000000098F4: D296003F 00024320
	v_accvgpr_read_b32 v32, a136                               // 0000000098FC: D3D84020 18000188
	v_accvgpr_read_b32 v33, a137                               // 000000009904: D3D84021 18000189
	v_mul_f32_e32 v32, s47, v32                                // 00000000990C: 0A40402F
	v_mul_f32_e32 v33, s47, v33                                // 000000009910: 0A42422F
	v_cvt_pkrtz_f16_f32 v64, v32, v33                          // 000000009914: D2960040 00024320
	v_accvgpr_read_b32 v32, a138                               // 00000000991C: D3D84020 1800018A
	v_accvgpr_read_b32 v33, a139                               // 000000009924: D3D84021 1800018B
	v_mul_f32_e32 v32, s47, v32                                // 00000000992C: 0A40402F
	v_mul_f32_e32 v33, s47, v33                                // 000000009930: 0A42422F
	v_cvt_pkrtz_f16_f32 v65, v32, v33                          // 000000009934: D2960041 00024320
	v_accvgpr_read_b32 v32, a140                               // 00000000993C: D3D84020 1800018C
	v_accvgpr_read_b32 v33, a141                               // 000000009944: D3D84021 1800018D
	v_mul_f32_e32 v32, s47, v32                                // 00000000994C: 0A40402F
	v_mul_f32_e32 v33, s47, v33                                // 000000009950: 0A42422F
	v_cvt_pkrtz_f16_f32 v66, v32, v33                          // 000000009954: D2960042 00024320
	v_accvgpr_read_b32 v32, a142                               // 00000000995C: D3D84020 1800018E
	v_accvgpr_read_b32 v33, a143                               // 000000009964: D3D84021 1800018F
	v_mul_f32_e32 v32, s47, v32                                // 00000000996C: 0A40402F
	v_mul_f32_e32 v33, s47, v33                                // 000000009970: 0A42422F
	v_cvt_pkrtz_f16_f32 v67, v32, v33                          // 000000009974: D2960043 00024320
	ds_write_b64 v27, v[60:61] offset:8704                     // 00000000997C: D89A2200 00003C1B
	ds_write_b64 v27, v[62:63] offset:9248                     // 000000009984: D89A2420 00003E1B
	ds_write_b64 v27, v[64:65] offset:9792                     // 00000000998C: D89A2640 0000401B
	ds_write_b64 v27, v[66:67] offset:10336                    // 000000009994: D89A2860 0000421B
	s_waitcnt lgkmcnt(0)                                       // 00000000999C: BF8CC07F
	s_barrier                                                  // 0000000099A0: BF8A0000
	ds_read_b64 v[60:61], v26 offset:8704                      // 0000000099A4: D8EC2200 3C00001A
	ds_read_b64 v[62:63], v26 offset:8832                      // 0000000099AC: D8EC2280 3E00001A
	ds_read_b64 v[64:65], v26 offset:8768                      // 0000000099B4: D8EC2240 4000001A
	ds_read_b64 v[66:67], v26 offset:8896                      // 0000000099BC: D8EC22C0 4200001A
	s_waitcnt lgkmcnt(0)                                       // 0000000099C4: BF8CC07F
	s_mov_b32 s70, s52                                         // 0000000099C8: BEC60034
	buffer_store_dwordx4 v[60:63], v5, s[36:39], 0 idxen       // 0000000099CC: E07C2000 80093C05
	s_mul_i32 s60, 2, s70                                      // 0000000099D4: 923C4682
	v_add_u32_e32 v5, s60, v5                                  // 0000000099D8: 680A0A3C
	buffer_store_dwordx4 v[64:67], v5, s[36:39], 0 idxen       // 0000000099DC: E07C2000 80094005
	s_mul_i32 s60, 2, s70                                      // 0000000099E4: 923C4682
	v_add_u32_e32 v5, s60, v5                                  // 0000000099E8: 680A0A3C
	s_mul_i32 s60, 12, s70                                     // 0000000099EC: 923C468C
	v_add_u32_e32 v5, s60, v5                                  // 0000000099F0: 680A0A3C
	s_barrier                                                  // 0000000099F4: BF8A0000
	s_cmp_ge_i32 2, s72                                        // 0000000099F8: BF034882
	s_cbranch_scc1 label_1705                                  // 0000000099FC: BF850061
	v_accvgpr_read_b32 v32, a144                               // 000000009A00: D3D84020 18000190
	v_accvgpr_read_b32 v33, a145                               // 000000009A08: D3D84021 18000191
	v_mul_f32_e32 v32, s47, v32                                // 000000009A10: 0A40402F
	v_mul_f32_e32 v33, s47, v33                                // 000000009A14: 0A42422F
	v_cvt_pkrtz_f16_f32 v68, v32, v33                          // 000000009A18: D2960044 00024320
	v_accvgpr_read_b32 v32, a146                               // 000000009A20: D3D84020 18000192
	v_accvgpr_read_b32 v33, a147                               // 000000009A28: D3D84021 18000193
	v_mul_f32_e32 v32, s47, v32                                // 000000009A30: 0A40402F
	v_mul_f32_e32 v33, s47, v33                                // 000000009A34: 0A42422F
	v_cvt_pkrtz_f16_f32 v69, v32, v33                          // 000000009A38: D2960045 00024320
	v_accvgpr_read_b32 v32, a148                               // 000000009A40: D3D84020 18000194
	v_accvgpr_read_b32 v33, a149                               // 000000009A48: D3D84021 18000195
	v_mul_f32_e32 v32, s47, v32                                // 000000009A50: 0A40402F
	v_mul_f32_e32 v33, s47, v33                                // 000000009A54: 0A42422F
	v_cvt_pkrtz_f16_f32 v70, v32, v33                          // 000000009A58: D2960046 00024320
	v_accvgpr_read_b32 v32, a150                               // 000000009A60: D3D84020 18000196
	v_accvgpr_read_b32 v33, a151                               // 000000009A68: D3D84021 18000197
	v_mul_f32_e32 v32, s47, v32                                // 000000009A70: 0A40402F
	v_mul_f32_e32 v33, s47, v33                                // 000000009A74: 0A42422F
	v_cvt_pkrtz_f16_f32 v71, v32, v33                          // 000000009A78: D2960047 00024320
	v_accvgpr_read_b32 v32, a152                               // 000000009A80: D3D84020 18000198
	v_accvgpr_read_b32 v33, a153                               // 000000009A88: D3D84021 18000199
	v_mul_f32_e32 v32, s47, v32                                // 000000009A90: 0A40402F
	v_mul_f32_e32 v33, s47, v33                                // 000000009A94: 0A42422F
	v_cvt_pkrtz_f16_f32 v72, v32, v33                          // 000000009A98: D2960048 00024320
	v_accvgpr_read_b32 v32, a154                               // 000000009AA0: D3D84020 1800019A
	v_accvgpr_read_b32 v33, a155                               // 000000009AA8: D3D84021 1800019B
	v_mul_f32_e32 v32, s47, v32                                // 000000009AB0: 0A40402F
	v_mul_f32_e32 v33, s47, v33                                // 000000009AB4: 0A42422F
	v_cvt_pkrtz_f16_f32 v73, v32, v33                          // 000000009AB8: D2960049 00024320
	v_accvgpr_read_b32 v32, a156                               // 000000009AC0: D3D84020 1800019C
	v_accvgpr_read_b32 v33, a157                               // 000000009AC8: D3D84021 1800019D
	v_mul_f32_e32 v32, s47, v32                                // 000000009AD0: 0A40402F
	v_mul_f32_e32 v33, s47, v33                                // 000000009AD4: 0A42422F
	v_cvt_pkrtz_f16_f32 v74, v32, v33                          // 000000009AD8: D296004A 00024320
	v_accvgpr_read_b32 v32, a158                               // 000000009AE0: D3D84020 1800019E
	v_accvgpr_read_b32 v33, a159                               // 000000009AE8: D3D84021 1800019F
	v_mul_f32_e32 v32, s47, v32                                // 000000009AF0: 0A40402F
	v_mul_f32_e32 v33, s47, v33                                // 000000009AF4: 0A42422F
	v_cvt_pkrtz_f16_f32 v75, v32, v33                          // 000000009AF8: D296004B 00024320
	ds_write_b64 v27, v[68:69] offset:17408                    // 000000009B00: D89A4400 0000441B
	ds_write_b64 v27, v[70:71] offset:17952                    // 000000009B08: D89A4620 0000461B
	ds_write_b64 v27, v[72:73] offset:18496                    // 000000009B10: D89A4840 0000481B
	ds_write_b64 v27, v[74:75] offset:19040                    // 000000009B18: D89A4A60 00004A1B
	s_waitcnt lgkmcnt(0)                                       // 000000009B20: BF8CC07F
	s_barrier                                                  // 000000009B24: BF8A0000
	ds_read_b64 v[68:69], v26 offset:17408                     // 000000009B28: D8EC4400 4400001A
	ds_read_b64 v[70:71], v26 offset:17536                     // 000000009B30: D8EC4480 4600001A
	ds_read_b64 v[72:73], v26 offset:17472                     // 000000009B38: D8EC4440 4800001A
	ds_read_b64 v[74:75], v26 offset:17600                     // 000000009B40: D8EC44C0 4A00001A
	s_waitcnt lgkmcnt(0)                                       // 000000009B48: BF8CC07F
	s_mov_b32 s70, s52                                         // 000000009B4C: BEC60034
	buffer_store_dwordx4 v[68:71], v5, s[36:39], 0 idxen       // 000000009B50: E07C2000 80094405
	s_mul_i32 s60, 2, s70                                      // 000000009B58: 923C4682
	v_add_u32_e32 v5, s60, v5                                  // 000000009B5C: 680A0A3C
	buffer_store_dwordx4 v[72:75], v5, s[36:39], 0 idxen       // 000000009B60: E07C2000 80094805
	s_mul_i32 s60, 2, s70                                      // 000000009B68: 923C4682
	v_add_u32_e32 v5, s60, v5                                  // 000000009B6C: 680A0A3C
	s_mul_i32 s60, 12, s70                                     // 000000009B70: 923C468C
	v_add_u32_e32 v5, s60, v5                                  // 000000009B74: 680A0A3C
	s_barrier                                                  // 000000009B78: BF8A0000
	s_cmp_ge_i32 3, s72                                        // 000000009B7C: BF034883
	s_cbranch_scc1 label_1705                                  // 000000009B80: BF850000

0000000000009b84 <label_1705>:
	v_mov_b32_e32 v32, v180                                    // 000000009B84: 7E4003B4
	v_mov_b32_e32 v33, v181                                    // 000000009B88: 7E4203B5
	v_cvt_pkrtz_f16_f32 v180, v32, v33                         // 000000009B8C: D29600B4 00024320
	v_mov_b32_e32 v32, v182                                    // 000000009B94: 7E4003B6
	v_mov_b32_e32 v33, v183                                    // 000000009B98: 7E4203B7
	v_cvt_pkrtz_f16_f32 v181, v32, v33                         // 000000009B9C: D29600B5 00024320
	v_mov_b32_e32 v32, v184                                    // 000000009BA4: 7E4003B8
	v_mov_b32_e32 v33, v185                                    // 000000009BA8: 7E4203B9
	v_cvt_pkrtz_f16_f32 v182, v32, v33                         // 000000009BAC: D29600B6 00024320
	v_mov_b32_e32 v32, v186                                    // 000000009BB4: 7E4003BA
	v_mov_b32_e32 v33, v187                                    // 000000009BB8: 7E4203BB
	v_cvt_pkrtz_f16_f32 v183, v32, v33                         // 000000009BBC: D29600B7 00024320
	v_mov_b32_e32 v32, v188                                    // 000000009BC4: 7E4003BC
	v_mov_b32_e32 v33, v189                                    // 000000009BC8: 7E4203BD
	v_cvt_pkrtz_f16_f32 v184, v32, v33                         // 000000009BCC: D29600B8 00024320
	v_mov_b32_e32 v32, v190                                    // 000000009BD4: 7E4003BE
	v_mov_b32_e32 v33, v191                                    // 000000009BD8: 7E4203BF
	v_cvt_pkrtz_f16_f32 v185, v32, v33                         // 000000009BDC: D29600B9 00024320
	v_mov_b32_e32 v32, v192                                    // 000000009BE4: 7E4003C0
	v_mov_b32_e32 v33, v193                                    // 000000009BE8: 7E4203C1
	v_cvt_pkrtz_f16_f32 v186, v32, v33                         // 000000009BEC: D29600BA 00024320
	v_mov_b32_e32 v32, v194                                    // 000000009BF4: 7E4003C2
	v_mov_b32_e32 v33, v195                                    // 000000009BF8: 7E4203C3
	v_cvt_pkrtz_f16_f32 v187, v32, v33                         // 000000009BFC: D29600BB 00024320
	ds_write_b64 v27, v[180:181]                               // 000000009C04: D89A0000 0000B41B
	ds_write_b64 v27, v[182:183] offset:544                    // 000000009C0C: D89A0220 0000B61B
	ds_write_b64 v27, v[184:185] offset:1088                   // 000000009C14: D89A0440 0000B81B
	ds_write_b64 v27, v[186:187] offset:1632                   // 000000009C1C: D89A0660 0000BA1B
	s_waitcnt lgkmcnt(0)                                       // 000000009C24: BF8CC07F
	s_barrier                                                  // 000000009C28: BF8A0000
	ds_read_b64 v[180:181], v26                                // 000000009C2C: D8EC0000 B400001A
	ds_read_b64 v[182:183], v26 offset:128                     // 000000009C34: D8EC0080 B600001A
	ds_read_b64 v[184:185], v26 offset:64                      // 000000009C3C: D8EC0040 B800001A
	ds_read_b64 v[186:187], v26 offset:192                     // 000000009C44: D8EC00C0 BA00001A
	s_waitcnt lgkmcnt(0)                                       // 000000009C4C: BF8CC07F
	s_mov_b32 s70, s53                                         // 000000009C50: BEC60035
	buffer_store_dwordx4 v[180:183], v10, s[40:43], 0 idxen    // 000000009C54: E07C2000 800AB40A
	s_mul_i32 s60, 2, s70                                      // 000000009C5C: 923C4682
	v_add_u32_e32 v10, s60, v10                                // 000000009C60: 6814143C
	buffer_store_dwordx4 v[184:187], v10, s[40:43], 0 idxen    // 000000009C64: E07C2000 800AB80A
	s_mul_i32 s60, 2, s70                                      // 000000009C6C: 923C4682
	v_add_u32_e32 v10, s60, v10                                // 000000009C70: 6814143C
	s_mul_i32 s60, 12, s70                                     // 000000009C74: 923C468C
	v_add_u32_e32 v10, s60, v10                                // 000000009C78: 6814143C
	s_cmp_ge_i32 1, s72                                        // 000000009C7C: BF034881
	s_cbranch_scc1 label_17C5                                  // 000000009C80: BF850080
	v_mov_b32_e32 v32, v196                                    // 000000009C84: 7E4003C4
	v_mov_b32_e32 v33, v197                                    // 000000009C88: 7E4203C5
	v_cvt_pkrtz_f16_f32 v188, v32, v33                         // 000000009C8C: D29600BC 00024320
	v_mov_b32_e32 v32, v198                                    // 000000009C94: 7E4003C6
	v_mov_b32_e32 v33, v199                                    // 000000009C98: 7E4203C7
	v_cvt_pkrtz_f16_f32 v189, v32, v33                         // 000000009C9C: D29600BD 00024320
	v_mov_b32_e32 v32, v200                                    // 000000009CA4: 7E4003C8
	v_mov_b32_e32 v33, v201                                    // 000000009CA8: 7E4203C9
	v_cvt_pkrtz_f16_f32 v190, v32, v33                         // 000000009CAC: D29600BE 00024320
	v_mov_b32_e32 v32, v202                                    // 000000009CB4: 7E4003CA
	v_mov_b32_e32 v33, v203                                    // 000000009CB8: 7E4203CB
	v_cvt_pkrtz_f16_f32 v191, v32, v33                         // 000000009CBC: D29600BF 00024320
	v_mov_b32_e32 v32, v204                                    // 000000009CC4: 7E4003CC
	v_mov_b32_e32 v33, v205                                    // 000000009CC8: 7E4203CD
	v_cvt_pkrtz_f16_f32 v192, v32, v33                         // 000000009CCC: D29600C0 00024320
	v_mov_b32_e32 v32, v206                                    // 000000009CD4: 7E4003CE
	v_mov_b32_e32 v33, v207                                    // 000000009CD8: 7E4203CF
	v_cvt_pkrtz_f16_f32 v193, v32, v33                         // 000000009CDC: D29600C1 00024320
	v_mov_b32_e32 v32, v208                                    // 000000009CE4: 7E4003D0
	v_mov_b32_e32 v33, v209                                    // 000000009CE8: 7E4203D1
	v_cvt_pkrtz_f16_f32 v194, v32, v33                         // 000000009CEC: D29600C2 00024320
	v_mov_b32_e32 v32, v210                                    // 000000009CF4: 7E4003D2
	v_mov_b32_e32 v33, v211                                    // 000000009CF8: 7E4203D3
	v_cvt_pkrtz_f16_f32 v195, v32, v33                         // 000000009CFC: D29600C3 00024320
	ds_write_b64 v27, v[188:189] offset:8704                   // 000000009D04: D89A2200 0000BC1B
	ds_write_b64 v27, v[190:191] offset:9248                   // 000000009D0C: D89A2420 0000BE1B
	ds_write_b64 v27, v[192:193] offset:9792                   // 000000009D14: D89A2640 0000C01B
	ds_write_b64 v27, v[194:195] offset:10336                  // 000000009D1C: D89A2860 0000C21B
	s_waitcnt lgkmcnt(0)                                       // 000000009D24: BF8CC07F
	s_barrier                                                  // 000000009D28: BF8A0000
	ds_read_b64 v[188:189], v26 offset:8704                    // 000000009D2C: D8EC2200 BC00001A
	ds_read_b64 v[190:191], v26 offset:8832                    // 000000009D34: D8EC2280 BE00001A
	ds_read_b64 v[192:193], v26 offset:8768                    // 000000009D3C: D8EC2240 C000001A
	ds_read_b64 v[194:195], v26 offset:8896                    // 000000009D44: D8EC22C0 C200001A
	s_waitcnt lgkmcnt(0)                                       // 000000009D4C: BF8CC07F
	s_mov_b32 s70, s53                                         // 000000009D50: BEC60035
	buffer_store_dwordx4 v[188:191], v10, s[40:43], 0 idxen    // 000000009D54: E07C2000 800ABC0A
	s_mul_i32 s60, 2, s70                                      // 000000009D5C: 923C4682
	v_add_u32_e32 v10, s60, v10                                // 000000009D60: 6814143C
	buffer_store_dwordx4 v[192:195], v10, s[40:43], 0 idxen    // 000000009D64: E07C2000 800AC00A
	s_mul_i32 s60, 2, s70                                      // 000000009D6C: 923C4682
	v_add_u32_e32 v10, s60, v10                                // 000000009D70: 6814143C
	s_mul_i32 s60, 12, s70                                     // 000000009D74: 923C468C
	v_add_u32_e32 v10, s60, v10                                // 000000009D78: 6814143C
	s_cmp_ge_i32 2, s72                                        // 000000009D7C: BF034882
	s_cbranch_scc1 label_17C5                                  // 000000009D80: BF850040
	v_mov_b32_e32 v32, v212                                    // 000000009D84: 7E4003D4
	v_mov_b32_e32 v33, v213                                    // 000000009D88: 7E4203D5
	v_cvt_pkrtz_f16_f32 v196, v32, v33                         // 000000009D8C: D29600C4 00024320
	v_mov_b32_e32 v32, v214                                    // 000000009D94: 7E4003D6
	v_mov_b32_e32 v33, v215                                    // 000000009D98: 7E4203D7
	v_cvt_pkrtz_f16_f32 v197, v32, v33                         // 000000009D9C: D29600C5 00024320
	v_mov_b32_e32 v32, v216                                    // 000000009DA4: 7E4003D8
	v_mov_b32_e32 v33, v217                                    // 000000009DA8: 7E4203D9
	v_cvt_pkrtz_f16_f32 v198, v32, v33                         // 000000009DAC: D29600C6 00024320
	v_mov_b32_e32 v32, v218                                    // 000000009DB4: 7E4003DA
	v_mov_b32_e32 v33, v219                                    // 000000009DB8: 7E4203DB
	v_cvt_pkrtz_f16_f32 v199, v32, v33                         // 000000009DBC: D29600C7 00024320
	v_mov_b32_e32 v32, v220                                    // 000000009DC4: 7E4003DC
	v_mov_b32_e32 v33, v221                                    // 000000009DC8: 7E4203DD
	v_cvt_pkrtz_f16_f32 v200, v32, v33                         // 000000009DCC: D29600C8 00024320
	v_mov_b32_e32 v32, v222                                    // 000000009DD4: 7E4003DE
	v_mov_b32_e32 v33, v223                                    // 000000009DD8: 7E4203DF
	v_cvt_pkrtz_f16_f32 v201, v32, v33                         // 000000009DDC: D29600C9 00024320
	v_mov_b32_e32 v32, v224                                    // 000000009DE4: 7E4003E0
	v_mov_b32_e32 v33, v225                                    // 000000009DE8: 7E4203E1
	v_cvt_pkrtz_f16_f32 v202, v32, v33                         // 000000009DEC: D29600CA 00024320
	v_mov_b32_e32 v32, v226                                    // 000000009DF4: 7E4003E2
	v_mov_b32_e32 v33, v227                                    // 000000009DF8: 7E4203E3
	v_cvt_pkrtz_f16_f32 v203, v32, v33                         // 000000009DFC: D29600CB 00024320
	ds_write_b64 v27, v[196:197] offset:17408                  // 000000009E04: D89A4400 0000C41B
	ds_write_b64 v27, v[198:199] offset:17952                  // 000000009E0C: D89A4620 0000C61B
	ds_write_b64 v27, v[200:201] offset:18496                  // 000000009E14: D89A4840 0000C81B
	ds_write_b64 v27, v[202:203] offset:19040                  // 000000009E1C: D89A4A60 0000CA1B
	s_waitcnt lgkmcnt(0)                                       // 000000009E24: BF8CC07F
	s_barrier                                                  // 000000009E28: BF8A0000
	ds_read_b64 v[196:197], v26 offset:17408                   // 000000009E2C: D8EC4400 C400001A
	ds_read_b64 v[198:199], v26 offset:17536                   // 000000009E34: D8EC4480 C600001A
	ds_read_b64 v[200:201], v26 offset:17472                   // 000000009E3C: D8EC4440 C800001A
	ds_read_b64 v[202:203], v26 offset:17600                   // 000000009E44: D8EC44C0 CA00001A
	s_waitcnt lgkmcnt(0)                                       // 000000009E4C: BF8CC07F
	s_mov_b32 s70, s53                                         // 000000009E50: BEC60035
	buffer_store_dwordx4 v[196:199], v10, s[40:43], 0 idxen    // 000000009E54: E07C2000 800AC40A
	s_mul_i32 s60, 2, s70                                      // 000000009E5C: 923C4682
	v_add_u32_e32 v10, s60, v10                                // 000000009E60: 6814143C
	buffer_store_dwordx4 v[200:203], v10, s[40:43], 0 idxen    // 000000009E64: E07C2000 800AC80A
	s_mul_i32 s60, 2, s70                                      // 000000009E6C: 923C4682
	v_add_u32_e32 v10, s60, v10                                // 000000009E70: 6814143C
	s_mul_i32 s60, 12, s70                                     // 000000009E74: 923C468C
	v_add_u32_e32 v10, s60, v10                                // 000000009E78: 6814143C
	s_cmp_ge_i32 3, s72                                        // 000000009E7C: BF034883
	s_cbranch_scc1 label_17C5                                  // 000000009E80: BF850000

0000000000009e84 <label_17C5>:
	s_waitcnt vmcnt(0) expcnt(0) lgkmcnt(0)                    // 000000009E84: BF8C0000
	s_sub_i32 s60, s77, 1                                      // 000000009E88: 81BC814D
	s_sub_i32 s2, s60, s2                                      // 000000009E8C: 8182023C
	s_addk_i32 s75, 0x1                                        // 000000009E90: B74B0001
	s_cmp_lt_i32 s75, s76                                      // 000000009E94: BF044C4B
	s_cbranch_scc1 label_014A                                  // 000000009E98: BF85E9A3
	s_endpgm                                                   // 000000009E9C: BF810000
